;; amdgpu-corpus repo=ROCm/rocFFT kind=compiled arch=gfx906 opt=O3
	.text
	.amdgcn_target "amdgcn-amd-amdhsa--gfx906"
	.amdhsa_code_object_version 6
	.protected	bluestein_single_fwd_len1350_dim1_half_op_CI_CI ; -- Begin function bluestein_single_fwd_len1350_dim1_half_op_CI_CI
	.globl	bluestein_single_fwd_len1350_dim1_half_op_CI_CI
	.p2align	8
	.type	bluestein_single_fwd_len1350_dim1_half_op_CI_CI,@function
bluestein_single_fwd_len1350_dim1_half_op_CI_CI: ; @bluestein_single_fwd_len1350_dim1_half_op_CI_CI
; %bb.0:
	s_load_dwordx4 s[16:19], s[4:5], 0x28
	v_mul_u32_u24_e32 v1, 0x1e6, v0
	v_add_u32_sdwa v8, s6, v1 dst_sel:DWORD dst_unused:UNUSED_PAD src0_sel:DWORD src1_sel:WORD_1
	v_mov_b32_e32 v9, 0
	s_waitcnt lgkmcnt(0)
	v_cmp_gt_u64_e32 vcc, s[16:17], v[8:9]
	s_and_saveexec_b64 s[0:1], vcc
	s_cbranch_execz .LBB0_26
; %bb.1:
	s_load_dwordx4 s[0:3], s[4:5], 0x18
	s_load_dwordx4 s[12:15], s[4:5], 0x0
	s_waitcnt lgkmcnt(0)
	s_load_dwordx4 s[8:11], s[0:1], 0x0
	s_movk_i32 s0, 0x87
	v_mul_lo_u16_sdwa v1, v1, s0 dst_sel:DWORD dst_unused:UNUSED_PAD src0_sel:WORD_1 src1_sel:DWORD
	v_sub_u16_e32 v50, v0, v1
	v_lshlrev_b32_e32 v47, 2, v50
	s_waitcnt lgkmcnt(0)
	v_mad_u64_u32 v[0:1], s[6:7], s10, v8, 0
	v_mad_u64_u32 v[2:3], s[6:7], s8, v50, 0
	s_mul_i32 s1, s9, 0x438
	global_load_dword v52, v47, s[12:13]
	global_load_dword v51, v47, s[12:13] offset:1080
	v_mad_u64_u32 v[4:5], s[6:7], s11, v8, v[1:2]
	v_add_u32_e32 v17, 0xc00, v47
	v_add_u32_e32 v19, 0x1000, v47
	v_mad_u64_u32 v[5:6], s[6:7], s9, v50, v[3:4]
	v_mov_b32_e32 v1, v4
	v_lshlrev_b64 v[0:1], 2, v[0:1]
	v_mov_b32_e32 v6, s19
	v_mov_b32_e32 v3, v5
	v_add_co_u32_e32 v4, vcc, s18, v0
	v_addc_co_u32_e32 v5, vcc, v6, v1, vcc
	v_lshlrev_b64 v[0:1], 2, v[2:3]
	v_mov_b32_e32 v2, s13
	v_add_co_u32_e32 v0, vcc, v4, v0
	v_addc_co_u32_e32 v1, vcc, v5, v1, vcc
	global_load_dword v4, v[0:1], off
	v_add_co_u32_e32 v5, vcc, s12, v47
	s_mul_hi_u32 s6, s8, 0x438
	v_addc_co_u32_e32 v6, vcc, 0, v2, vcc
	s_add_i32 s1, s6, s1
	s_mul_i32 s6, s8, 0x438
	v_mov_b32_e32 v2, s1
	v_add_co_u32_e32 v0, vcc, s6, v0
	v_addc_co_u32_e32 v1, vcc, v1, v2, vcc
	v_mov_b32_e32 v3, s1
	v_add_co_u32_e32 v2, vcc, s6, v0
	v_addc_co_u32_e32 v3, vcc, v1, v3, vcc
	global_load_dword v7, v[0:1], off
	global_load_dword v9, v[2:3], off
	global_load_dword v49, v47, s[12:13] offset:2160
	v_mov_b32_e32 v1, s1
	v_add_co_u32_e32 v0, vcc, s6, v2
	v_addc_co_u32_e32 v1, vcc, v3, v1, vcc
	v_mov_b32_e32 v3, s1
	v_add_co_u32_e32 v2, vcc, s6, v0
	global_load_dword v48, v47, s[12:13] offset:3240
	v_addc_co_u32_e32 v3, vcc, v1, v3, vcc
	global_load_dword v10, v[0:1], off
	global_load_dword v11, v[2:3], off
	s_movk_i32 s7, 0x1000
	v_add_co_u32_e32 v0, vcc, s7, v5
	v_mov_b32_e32 v5, 0xfffff13c
	v_addc_co_u32_e32 v1, vcc, 0, v6, vcc
	v_mad_u64_u32 v[2:3], s[10:11], s8, v5, v[2:3]
	global_load_dword v45, v[0:1], off offset:224
	s_mul_i32 s7, s9, 0xfffff13c
	s_sub_i32 s7, s7, s8
	v_add_u32_e32 v3, s7, v3
	global_load_dword v5, v[2:3], off
	global_load_dword v42, v47, s[12:13] offset:3780
	global_load_dword v43, v47, s[12:13] offset:2700
	;; [unrolled: 1-line block ×4, first 2 shown]
	v_mov_b32_e32 v6, s1
	v_add_co_u32_e32 v2, vcc, s6, v2
	v_addc_co_u32_e32 v3, vcc, v3, v6, vcc
	global_load_dword v6, v[2:3], off
	v_mov_b32_e32 v12, s1
	v_add_co_u32_e32 v2, vcc, s6, v2
	v_addc_co_u32_e32 v3, vcc, v3, v12, vcc
	global_load_dword v12, v[2:3], off
	;; [unrolled: 4-line block ×4, first 2 shown]
	global_load_dword v41, v[0:1], off offset:764
	s_load_dwordx4 s[8:11], s[2:3], 0x0
	v_add_co_u32_e32 v56, vcc, s0, v50
	v_addc_co_u32_e64 v33, s[0:1], 0, 0, vcc
	s_movk_i32 s1, 0x3b9c
	s_movk_i32 s2, 0x38b4
	s_mov_b32 s3, 0xffff
	s_movk_i32 s0, 0x34f2
	s_waitcnt vmcnt(17)
	v_lshrrev_b32_e32 v0, 16, v4
	v_mul_f16_sdwa v1, v52, v0 dst_sel:DWORD dst_unused:UNUSED_PAD src0_sel:WORD_1 src1_sel:DWORD
	v_mul_f16_sdwa v2, v52, v4 dst_sel:DWORD dst_unused:UNUSED_PAD src0_sel:WORD_1 src1_sel:DWORD
	v_fma_f16 v1, v52, v4, v1
	v_fma_f16 v0, v52, v0, -v2
	v_pack_b32_f16 v0, v1, v0
	s_waitcnt vmcnt(16)
	v_lshrrev_b32_e32 v1, 16, v7
	v_mul_f16_sdwa v2, v51, v1 dst_sel:DWORD dst_unused:UNUSED_PAD src0_sel:WORD_1 src1_sel:DWORD
	v_mul_f16_sdwa v3, v51, v7 dst_sel:DWORD dst_unused:UNUSED_PAD src0_sel:WORD_1 src1_sel:DWORD
	v_fma_f16 v2, v51, v7, v2
	v_fma_f16 v1, v51, v1, -v3
	v_pack_b32_f16 v1, v2, v1
	ds_write_b32 v47, v1 offset:1080
	s_waitcnt vmcnt(15)
	v_lshrrev_b32_e32 v1, 16, v9
	s_waitcnt vmcnt(14)
	v_mul_f16_sdwa v2, v49, v1 dst_sel:DWORD dst_unused:UNUSED_PAD src0_sel:WORD_1 src1_sel:DWORD
	v_mul_f16_sdwa v3, v49, v9 dst_sel:DWORD dst_unused:UNUSED_PAD src0_sel:WORD_1 src1_sel:DWORD
	v_fma_f16 v2, v49, v9, v2
	v_fma_f16 v1, v49, v1, -v3
	v_pack_b32_f16 v1, v2, v1
	ds_write_b32 v47, v1 offset:2160
	s_waitcnt vmcnt(12)
	v_lshrrev_b32_e32 v1, 16, v10
	v_mul_f16_sdwa v2, v48, v1 dst_sel:DWORD dst_unused:UNUSED_PAD src0_sel:WORD_1 src1_sel:DWORD
	v_mul_f16_sdwa v3, v48, v10 dst_sel:DWORD dst_unused:UNUSED_PAD src0_sel:WORD_1 src1_sel:DWORD
	v_fma_f16 v2, v48, v10, v2
	v_fma_f16 v1, v48, v1, -v3
	v_pack_b32_f16 v1, v2, v1
	ds_write_b32 v47, v1 offset:3240
	s_waitcnt vmcnt(11)
	v_lshrrev_b32_e32 v1, 16, v11
	v_add_u32_e32 v10, 0x400, v47
	s_waitcnt vmcnt(10)
	v_mul_f16_sdwa v2, v45, v1 dst_sel:DWORD dst_unused:UNUSED_PAD src0_sel:WORD_1 src1_sel:DWORD
	v_mul_f16_sdwa v3, v45, v11 dst_sel:DWORD dst_unused:UNUSED_PAD src0_sel:WORD_1 src1_sel:DWORD
	v_fma_f16 v2, v45, v11, v2
	v_fma_f16 v1, v45, v1, -v3
	v_pack_b32_f16 v1, v2, v1
	ds_write_b32 v47, v1 offset:4320
	s_waitcnt vmcnt(9)
	v_lshrrev_b32_e32 v1, 16, v5
	s_waitcnt vmcnt(5)
	v_mul_f16_sdwa v2, v46, v1 dst_sel:DWORD dst_unused:UNUSED_PAD src0_sel:WORD_1 src1_sel:DWORD
	v_mul_f16_sdwa v3, v46, v5 dst_sel:DWORD dst_unused:UNUSED_PAD src0_sel:WORD_1 src1_sel:DWORD
	v_fma_f16 v2, v46, v5, v2
	v_fma_f16 v1, v46, v1, -v3
	v_pack_b32_f16 v1, v2, v1
	ds_write2_b32 v47, v0, v1 offset1:135
	s_waitcnt vmcnt(4)
	v_lshrrev_b32_e32 v0, 16, v6
	v_mul_f16_sdwa v1, v44, v0 dst_sel:DWORD dst_unused:UNUSED_PAD src0_sel:WORD_1 src1_sel:DWORD
	v_mul_f16_sdwa v2, v44, v6 dst_sel:DWORD dst_unused:UNUSED_PAD src0_sel:WORD_1 src1_sel:DWORD
	v_fma_f16 v1, v44, v6, v1
	v_fma_f16 v0, v44, v0, -v2
	v_pack_b32_f16 v0, v1, v0
	ds_write_b32 v47, v0 offset:1620
	s_waitcnt vmcnt(3)
	v_lshrrev_b32_e32 v0, 16, v12
	v_mul_f16_sdwa v1, v43, v0 dst_sel:DWORD dst_unused:UNUSED_PAD src0_sel:WORD_1 src1_sel:DWORD
	v_mul_f16_sdwa v2, v43, v12 dst_sel:DWORD dst_unused:UNUSED_PAD src0_sel:WORD_1 src1_sel:DWORD
	v_fma_f16 v1, v43, v12, v1
	v_fma_f16 v0, v43, v0, -v2
	v_pack_b32_f16 v0, v1, v0
	ds_write_b32 v47, v0 offset:2700
	;; [unrolled: 8-line block ×3, first 2 shown]
	s_waitcnt vmcnt(1)
	v_lshrrev_b32_e32 v0, 16, v14
	s_waitcnt vmcnt(0)
	v_mul_f16_sdwa v1, v41, v0 dst_sel:DWORD dst_unused:UNUSED_PAD src0_sel:WORD_1 src1_sel:DWORD
	v_mul_f16_sdwa v2, v41, v14 dst_sel:DWORD dst_unused:UNUSED_PAD src0_sel:WORD_1 src1_sel:DWORD
	v_fma_f16 v1, v41, v14, v1
	v_fma_f16 v0, v41, v0, -v2
	v_pack_b32_f16 v0, v1, v0
	v_add_u32_e32 v9, 0x800, v47
	ds_write_b32 v47, v0 offset:4860
	s_waitcnt lgkmcnt(0)
	s_barrier
	v_mul_lo_u16_e32 v0, 5, v50
	ds_read2_b32 v[2:3], v10 offset0:14 offset1:149
	ds_read2_b32 v[4:5], v9 offset0:28 offset1:163
	;; [unrolled: 1-line block ×4, first 2 shown]
	v_lshlrev_b32_e32 v54, 2, v0
	ds_read2_b32 v[0:1], v47 offset1:135
	s_waitcnt lgkmcnt(3)
	v_pk_add_f16 v22, v2, v4 neg_lo:[0,1] neg_hi:[0,1]
	s_waitcnt lgkmcnt(2)
	v_pk_add_f16 v15, v4, v6
	s_waitcnt lgkmcnt(1)
	v_pk_add_f16 v16, v2, v11 neg_lo:[0,1] neg_hi:[0,1]
	v_pk_mul_f16 v18, v16, s1 op_sel_hi:[1,0]
	s_waitcnt lgkmcnt(0)
	v_pk_fma_f16 v15, v15, 0.5, v0 op_sel_hi:[1,0,1] neg_lo:[1,0,0] neg_hi:[1,0,0]
	v_pk_add_f16 v20, v4, v6 neg_lo:[0,1] neg_hi:[0,1]
	v_pk_add_f16 v23, v11, v6 neg_lo:[0,1] neg_hi:[0,1]
	v_pk_add_f16 v14, v0, v2
	v_pk_mul_f16 v21, v20, s2 op_sel_hi:[1,0]
	v_pk_add_f16 v22, v22, v23
	v_pk_add_f16 v23, v15, v18 op_sel:[0,1] op_sel_hi:[1,0]
	v_pk_add_f16 v15, v15, v18 op_sel:[0,1] op_sel_hi:[1,0] neg_lo:[0,1] neg_hi:[0,1]
	v_pk_add_f16 v14, v14, v4
	v_pk_add_f16 v18, v23, v21 op_sel:[0,1] op_sel_hi:[1,0]
	v_pk_add_f16 v15, v15, v21 op_sel:[0,1] op_sel_hi:[1,0] neg_lo:[0,1] neg_hi:[0,1]
	v_pk_add_f16 v14, v14, v6
	v_bfi_b32 v21, s3, v18, v15
	v_pk_add_f16 v14, v14, v11
	v_pk_fma_f16 v21, v22, s0, v21 op_sel_hi:[1,0,1]
	s_barrier
	ds_write2_b32 v54, v14, v21 offset1:1
	v_pk_add_f16 v14, v2, v11
	v_pk_add_f16 v2, v4, v2 neg_lo:[0,1] neg_hi:[0,1]
	v_pk_add_f16 v4, v6, v11 neg_lo:[0,1] neg_hi:[0,1]
	v_pk_fma_f16 v0, v14, 0.5, v0 op_sel_hi:[1,0,1] neg_lo:[1,0,0] neg_hi:[1,0,0]
	v_pk_add_f16 v2, v2, v4
	v_pk_mul_f16 v4, v20, s1 op_sel_hi:[1,0]
	v_pk_mul_f16 v6, v16, s2 op_sel_hi:[1,0]
	v_pk_add_f16 v11, v0, v4 op_sel:[0,1] op_sel_hi:[1,0] neg_lo:[0,1] neg_hi:[0,1]
	v_pk_add_f16 v0, v0, v4 op_sel:[0,1] op_sel_hi:[1,0]
	v_pk_add_f16 v4, v11, v6 op_sel:[0,1] op_sel_hi:[1,0]
	v_pk_add_f16 v0, v0, v6 op_sel:[0,1] op_sel_hi:[1,0] neg_lo:[0,1] neg_hi:[0,1]
	v_bfi_b32 v6, s3, v4, v0
	v_bfi_b32 v0, s3, v0, v4
	v_pk_fma_f16 v6, v2, s0, v6 op_sel_hi:[1,0,1]
	v_pk_fma_f16 v0, v2, s0, v0 op_sel_hi:[1,0,1]
	ds_write2_b32 v54, v6, v0 offset0:2 offset1:3
	v_bfi_b32 v0, s3, v15, v18
	v_pk_fma_f16 v0, v22, s0, v0 op_sel_hi:[1,0,1]
	ds_write_b32 v54, v0 offset:16
	v_pk_add_f16 v0, v5, v7
	v_pk_add_f16 v2, v3, v12 neg_lo:[0,1] neg_hi:[0,1]
	v_mul_u32_u24_e32 v13, 5, v56
	v_pk_fma_f16 v0, v0, 0.5, v1 op_sel_hi:[1,0,1] neg_lo:[1,0,0] neg_hi:[1,0,0]
	v_pk_mul_f16 v4, v2, s1 op_sel_hi:[1,0]
	v_pk_add_f16 v6, v5, v7 neg_lo:[0,1] neg_hi:[0,1]
	v_pk_add_f16 v14, v3, v5 neg_lo:[0,1] neg_hi:[0,1]
	v_pk_add_f16 v15, v12, v7 neg_lo:[0,1] neg_hi:[0,1]
	v_lshlrev_b32_e32 v53, 2, v13
	v_pk_add_f16 v13, v1, v3
	v_pk_mul_f16 v11, v6, s2 op_sel_hi:[1,0]
	v_pk_add_f16 v14, v14, v15
	v_pk_add_f16 v15, v0, v4 op_sel:[0,1] op_sel_hi:[1,0]
	v_pk_add_f16 v0, v0, v4 op_sel:[0,1] op_sel_hi:[1,0] neg_lo:[0,1] neg_hi:[0,1]
	v_pk_add_f16 v13, v13, v5
	v_pk_add_f16 v4, v15, v11 op_sel:[0,1] op_sel_hi:[1,0]
	v_pk_add_f16 v0, v0, v11 op_sel:[0,1] op_sel_hi:[1,0] neg_lo:[0,1] neg_hi:[0,1]
	v_pk_add_f16 v13, v13, v7
	v_bfi_b32 v11, s3, v4, v0
	v_pk_add_f16 v13, v13, v12
	v_pk_fma_f16 v11, v14, s0, v11 op_sel_hi:[1,0,1]
	ds_write2_b32 v53, v13, v11 offset1:1
	v_pk_add_f16 v11, v3, v12
	v_pk_add_f16 v3, v5, v3 neg_lo:[0,1] neg_hi:[0,1]
	v_pk_add_f16 v5, v7, v12 neg_lo:[0,1] neg_hi:[0,1]
	v_pk_fma_f16 v1, v11, 0.5, v1 op_sel_hi:[1,0,1] neg_lo:[1,0,0] neg_hi:[1,0,0]
	v_pk_add_f16 v3, v3, v5
	v_pk_mul_f16 v5, v6, s1 op_sel_hi:[1,0]
	v_pk_mul_f16 v2, v2, s2 op_sel_hi:[1,0]
	v_pk_add_f16 v6, v1, v5 op_sel:[0,1] op_sel_hi:[1,0] neg_lo:[0,1] neg_hi:[0,1]
	v_pk_add_f16 v1, v1, v5 op_sel:[0,1] op_sel_hi:[1,0]
	v_pk_add_f16 v5, v6, v2 op_sel:[0,1] op_sel_hi:[1,0]
	v_pk_add_f16 v1, v1, v2 op_sel:[0,1] op_sel_hi:[1,0] neg_lo:[0,1] neg_hi:[0,1]
	v_bfi_b32 v0, s3, v0, v4
	v_bfi_b32 v2, s3, v5, v1
	;; [unrolled: 1-line block ×3, first 2 shown]
	v_pk_fma_f16 v0, v14, s0, v0 op_sel_hi:[1,0,1]
	s_movk_i32 s3, 0xcd
	ds_write_b32 v53, v0 offset:16
	v_mul_lo_u16_sdwa v0, v50, s3 dst_sel:DWORD dst_unused:UNUSED_PAD src0_sel:BYTE_0 src1_sel:DWORD
	v_lshrrev_b16_e32 v21, 10, v0
	v_mul_lo_u16_e32 v0, 5, v21
	v_sub_u16_e32 v0, v50, v0
	v_and_b32_e32 v22, 0xff, v0
	v_mad_u64_u32 v[11:12], s[6:7], v22, 36, s[14:15]
	v_pk_fma_f16 v2, v3, s0, v2 op_sel_hi:[1,0,1]
	v_pk_fma_f16 v1, v3, s0, v1 op_sel_hi:[1,0,1]
	ds_write2_b32 v53, v2, v1 offset0:2 offset1:3
	s_waitcnt lgkmcnt(0)
	s_barrier
	global_load_dwordx4 v[0:3], v[11:12], off
	global_load_dwordx4 v[4:7], v[11:12], off offset:16
	global_load_dword v55, v[11:12], off offset:32
	ds_read2_b32 v[11:12], v47 offset1:135
	ds_read2_b32 v[13:14], v10 offset0:14 offset1:149
	ds_read2_b32 v[15:16], v9 offset0:28 offset1:163
	;; [unrolled: 1-line block ×4, first 2 shown]
	s_waitcnt lgkmcnt(4)
	v_lshrrev_b32_e32 v24, 16, v12
	s_waitcnt lgkmcnt(3)
	v_lshrrev_b32_e32 v25, 16, v13
	v_lshrrev_b32_e32 v26, 16, v14
	s_waitcnt lgkmcnt(2)
	v_lshrrev_b32_e32 v27, 16, v15
	;; [unrolled: 3-line block ×4, first 2 shown]
	s_load_dwordx2 s[6:7], s[4:5], 0x38
	s_mov_b32 s4, 0xbb9c
	v_lshrrev_b32_e32 v32, 16, v20
	s_mov_b32 s3, 0xb8b4
	v_lshrrev_b32_e32 v23, 16, v11
	s_movk_i32 s5, 0x3a79
	s_waitcnt vmcnt(0) lgkmcnt(0)
	s_barrier
	v_mul_f16_sdwa v34, v24, v0 dst_sel:DWORD dst_unused:UNUSED_PAD src0_sel:DWORD src1_sel:WORD_1
	v_fma_f16 v34, v12, v0, -v34
	v_mul_f16_sdwa v12, v12, v0 dst_sel:DWORD dst_unused:UNUSED_PAD src0_sel:DWORD src1_sel:WORD_1
	v_fma_f16 v12, v24, v0, v12
	v_mul_f16_sdwa v24, v25, v1 dst_sel:DWORD dst_unused:UNUSED_PAD src0_sel:DWORD src1_sel:WORD_1
	v_fma_f16 v24, v13, v1, -v24
	v_mul_f16_sdwa v13, v13, v1 dst_sel:DWORD dst_unused:UNUSED_PAD src0_sel:DWORD src1_sel:WORD_1
	v_fma_f16 v13, v25, v1, v13
	;; [unrolled: 4-line block ×8, first 2 shown]
	v_add_f16_e32 v35, v26, v28
	v_fma_f16 v35, v35, -0.5, v11
	v_sub_f16_e32 v36, v13, v19
	v_fma_f16 v37, v36, s1, v35
	v_sub_f16_e32 v38, v15, v17
	v_sub_f16_e32 v39, v24, v26
	;; [unrolled: 1-line block ×3, first 2 shown]
	v_fma_f16 v35, v36, s4, v35
	v_mul_f16_sdwa v31, v32, v55 dst_sel:DWORD dst_unused:UNUSED_PAD src0_sel:DWORD src1_sel:WORD_1
	v_fma_f16 v37, v38, s2, v37
	v_add_f16_e32 v39, v39, v40
	v_fma_f16 v35, v38, s3, v35
	v_fma_f16 v31, v20, v55, -v31
	v_mul_f16_sdwa v20, v20, v55 dst_sel:DWORD dst_unused:UNUSED_PAD src0_sel:DWORD src1_sel:WORD_1
	v_fma_f16 v37, v39, s0, v37
	v_fma_f16 v35, v39, s0, v35
	v_add_f16_e32 v39, v24, v30
	v_fma_f16 v20, v32, v55, v20
	v_add_f16_e32 v32, v11, v24
	v_fma_f16 v11, v39, -0.5, v11
	v_add_f16_e32 v32, v32, v26
	v_fma_f16 v39, v38, s4, v11
	v_fma_f16 v11, v38, s1, v11
	v_add_f16_e32 v38, v15, v17
	v_add_f16_e32 v32, v32, v28
	v_sub_f16_e32 v40, v26, v24
	v_sub_f16_e32 v57, v28, v30
	v_fma_f16 v38, v38, -0.5, v23
	v_sub_f16_e32 v24, v24, v30
	v_add_f16_e32 v32, v32, v30
	v_fma_f16 v39, v36, s2, v39
	v_add_f16_e32 v40, v40, v57
	v_fma_f16 v11, v36, s3, v11
	v_fma_f16 v30, v24, s4, v38
	v_sub_f16_e32 v26, v26, v28
	v_fma_f16 v39, v40, s0, v39
	v_fma_f16 v11, v40, s0, v11
	;; [unrolled: 1-line block ×3, first 2 shown]
	v_sub_f16_e32 v30, v13, v15
	v_sub_f16_e32 v40, v19, v17
	v_fma_f16 v38, v24, s1, v38
	v_add_f16_e32 v36, v23, v13
	v_add_f16_e32 v30, v30, v40
	v_fma_f16 v38, v26, s2, v38
	v_add_f16_e32 v36, v36, v15
	v_fma_f16 v28, v30, s0, v28
	v_fma_f16 v30, v30, s0, v38
	v_add_f16_e32 v38, v13, v19
	v_add_f16_e32 v36, v36, v17
	v_fma_f16 v23, v38, -0.5, v23
	v_add_f16_e32 v36, v36, v19
	v_fma_f16 v38, v26, s1, v23
	v_sub_f16_e32 v13, v15, v13
	v_sub_f16_e32 v15, v17, v19
	v_add_f16_e32 v19, v27, v29
	v_fma_f16 v38, v24, s3, v38
	v_add_f16_e32 v13, v13, v15
	v_fma_f16 v17, v26, s4, v23
	v_fma_f16 v19, v19, -0.5, v34
	v_sub_f16_e32 v23, v14, v20
	v_fma_f16 v15, v13, s0, v38
	v_fma_f16 v17, v24, s2, v17
	v_fma_f16 v24, v23, s1, v19
	v_sub_f16_e32 v26, v16, v18
	v_sub_f16_e32 v38, v25, v27
	;; [unrolled: 1-line block ×3, first 2 shown]
	v_fma_f16 v19, v23, s4, v19
	v_fma_f16 v24, v26, s2, v24
	v_add_f16_e32 v38, v38, v40
	v_fma_f16 v19, v26, s3, v19
	v_fma_f16 v24, v38, s0, v24
	;; [unrolled: 1-line block ×3, first 2 shown]
	v_add_f16_e32 v38, v25, v31
	v_fma_f16 v13, v13, s0, v17
	v_add_f16_e32 v17, v34, v25
	v_fma_f16 v34, v38, -0.5, v34
	v_add_f16_e32 v17, v17, v27
	v_fma_f16 v38, v26, s4, v34
	v_fma_f16 v26, v26, s1, v34
	v_add_f16_e32 v34, v16, v18
	v_add_f16_e32 v17, v17, v29
	v_sub_f16_e32 v40, v27, v25
	v_sub_f16_e32 v57, v29, v31
	v_fma_f16 v34, v34, -0.5, v12
	v_sub_f16_e32 v25, v25, v31
	v_add_f16_e32 v17, v17, v31
	v_fma_f16 v38, v23, s2, v38
	v_add_f16_e32 v40, v40, v57
	v_fma_f16 v23, v23, s3, v26
	v_fma_f16 v31, v25, s4, v34
	v_sub_f16_e32 v27, v27, v29
	v_fma_f16 v38, v40, s0, v38
	v_fma_f16 v23, v40, s0, v23
	;; [unrolled: 1-line block ×3, first 2 shown]
	v_sub_f16_e32 v31, v14, v16
	v_sub_f16_e32 v40, v20, v18
	v_fma_f16 v34, v25, s1, v34
	v_add_f16_e32 v31, v31, v40
	v_fma_f16 v34, v27, s2, v34
	v_fma_f16 v29, v31, s0, v29
	;; [unrolled: 1-line block ×3, first 2 shown]
	v_add_f16_e32 v34, v14, v20
	v_add_f16_e32 v26, v12, v14
	v_fma_f16 v12, v34, -0.5, v12
	v_add_f16_e32 v26, v26, v16
	v_fma_f16 v34, v27, s1, v12
	v_sub_f16_e32 v14, v16, v14
	v_sub_f16_e32 v16, v18, v20
	v_fma_f16 v12, v27, s4, v12
	v_fma_f16 v34, v25, s3, v34
	v_add_f16_e32 v14, v14, v16
	v_fma_f16 v12, v25, s2, v12
	v_add_f16_e32 v26, v26, v18
	v_fma_f16 v16, v14, s0, v34
	v_fma_f16 v12, v14, s0, v12
	v_mul_f16_e32 v18, 0x38b4, v29
	v_mul_f16_e32 v27, 0x34f2, v23
	v_fma_f16 v18, v24, s5, v18
	v_mul_f16_e32 v25, 0x3b9c, v16
	v_fma_f16 v27, v12, s1, -v27
	v_mul_f16_e32 v24, 0xb8b4, v24
	v_mul_f16_e32 v12, 0x34f2, v12
	v_add_f16_e32 v26, v26, v20
	v_fma_f16 v25, v38, s0, v25
	v_mul_f16_e32 v57, 0x3a79, v19
	v_fma_f16 v24, v29, s5, v24
	v_mul_f16_e32 v38, 0xbb9c, v38
	v_fma_f16 v12, v23, s4, -v12
	v_add_f16_e32 v14, v32, v17
	v_add_f16_e32 v20, v37, v18
	v_fma_f16 v57, v31, s2, -v57
	v_add_f16_e32 v59, v36, v26
	v_add_f16_e32 v29, v28, v24
	v_fma_f16 v16, v16, s0, v38
	v_add_f16_e32 v23, v13, v12
	v_mul_f16_e32 v31, 0x3a79, v31
	v_sub_f16_e32 v12, v13, v12
	v_mul_u32_u24_e32 v13, 50, v21
	v_add_f16_e32 v34, v39, v25
	v_add_f16_e32 v40, v11, v27
	;; [unrolled: 1-line block ×4, first 2 shown]
	v_fma_f16 v19, v19, s3, -v31
	v_sub_f16_e32 v11, v11, v27
	v_sub_f16_e32 v27, v35, v57
	v_add_lshl_u32 v57, v13, v22, 2
	v_pack_b32_f16 v13, v14, v59
	v_pack_b32_f16 v14, v20, v29
	v_add_f16_e32 v31, v30, v19
	v_sub_f16_e32 v17, v32, v17
	v_sub_f16_e32 v26, v36, v26
	ds_write2_b32 v57, v13, v14 offset1:5
	v_pack_b32_f16 v13, v34, v38
	v_pack_b32_f16 v14, v40, v23
	v_sub_f16_e32 v18, v37, v18
	v_sub_f16_e32 v25, v39, v25
	;; [unrolled: 1-line block ×5, first 2 shown]
	ds_write2_b32 v57, v13, v14 offset0:10 offset1:15
	v_pack_b32_f16 v13, v58, v31
	v_pack_b32_f16 v14, v17, v26
	ds_write2_b32 v57, v13, v14 offset0:20 offset1:25
	v_pack_b32_f16 v13, v18, v24
	v_pack_b32_f16 v14, v25, v15
	;; [unrolled: 1-line block ×4, first 2 shown]
	ds_write2_b32 v57, v13, v14 offset0:30 offset1:35
	ds_write2_b32 v57, v11, v12 offset0:40 offset1:45
	s_waitcnt lgkmcnt(0)
	s_barrier
	ds_read2_b32 v[19:20], v47 offset1:135
	ds_read2_b32 v[17:18], v10 offset0:14 offset1:194
	v_add_u32_e32 v10, 0xe00, v47
	ds_read2_b32 v[23:24], v10 offset0:4 offset1:139
	ds_read2_b32 v[21:22], v9 offset0:73 offset1:208
	ds_read_b32 v29, v47 offset:4680
	v_cmp_gt_u16_e64 s[0:1], 45, v50
                                        ; implicit-def: $vgpr30
                                        ; implicit-def: $vgpr32
                                        ; implicit-def: $vgpr31
                                        ; implicit-def: $vgpr34
	s_and_saveexec_b64 s[2:3], s[0:1]
	s_cbranch_execz .LBB0_3
; %bb.2:
	ds_read_b32 v27, v47 offset:1620
	ds_read_b32 v30, v47 offset:3420
	;; [unrolled: 1-line block ×3, first 2 shown]
	s_waitcnt lgkmcnt(2)
	v_lshrrev_b32_e32 v28, 16, v27
	s_waitcnt lgkmcnt(1)
	v_lshrrev_b32_e32 v32, 16, v30
	;; [unrolled: 2-line block ×3, first 2 shown]
.LBB0_3:
	s_or_b64 exec, exec, s[2:3]
	v_lshrrev_b16_e32 v11, 1, v56
	v_add_co_u32_e32 v25, vcc, 0x10e, v50
	v_mul_u32_u24_e32 v11, 0x147b, v11
	v_lshrrev_b32_e32 v60, 17, v11
	v_lshrrev_b16_e32 v37, 1, v25
	s_mov_b64 s[2:3], vcc
	v_add_co_u32_e32 v65, vcc, 0x195, v50
	v_mov_b32_e32 v9, 41
	v_mul_lo_u16_e32 v11, 50, v60
	v_mul_u32_u24_e32 v13, 0x147b, v37
	v_mul_lo_u16_sdwa v9, v50, v9 dst_sel:DWORD dst_unused:UNUSED_PAD src0_sel:BYTE_0 src1_sel:DWORD
	v_sub_u16_e32 v61, v56, v11
	v_lshrrev_b32_e32 v63, 17, v13
	v_lshrrev_b16_e32 v36, 1, v65
	v_lshrrev_b16_e32 v58, 11, v9
	v_lshlrev_b16_e32 v11, 3, v61
	v_mul_lo_u16_e32 v13, 50, v63
	v_mul_u32_u24_e32 v15, 0x147b, v36
	v_mul_lo_u16_e32 v9, 50, v58
	v_mov_b32_e32 v16, s15
	v_add_co_u32_e64 v11, s[4:5], s14, v11
	v_sub_u16_e32 v64, v25, v13
	v_lshrrev_b32_e32 v15, 17, v15
	v_sub_u16_e32 v9, v50, v9
	v_addc_co_u32_e64 v12, s[4:5], 0, v16, s[4:5]
	v_lshlrev_b16_e32 v13, 3, v64
	v_mul_lo_u16_e32 v15, 50, v15
	v_and_b32_e32 v59, 0xff, v9
	v_add_co_u32_e64 v13, s[4:5], s14, v13
	v_sub_u16_e32 v67, v65, v15
	v_lshlrev_b32_e32 v9, 3, v59
	v_addc_co_u32_e64 v14, s[4:5], 0, v16, s[4:5]
	v_lshlrev_b16_e32 v15, 3, v67
	global_load_dwordx2 v[9:10], v9, s[14:15] offset:180
	v_add_co_u32_e64 v15, s[4:5], s14, v15
	global_load_dwordx2 v[11:12], v[11:12], off offset:180
	v_addc_co_u32_e64 v16, s[4:5], 0, v16, s[4:5]
	global_load_dwordx2 v[13:14], v[13:14], off offset:180
	s_waitcnt lgkmcnt(3)
	v_lshrrev_b32_e32 v38, 16, v18
	global_load_dwordx2 v[15:16], v[15:16], off offset:180
	s_waitcnt lgkmcnt(2)
	v_lshrrev_b32_e32 v39, 16, v23
	s_waitcnt lgkmcnt(1)
	v_lshrrev_b32_e32 v70, 16, v22
	;; [unrolled: 2-line block ×3, first 2 shown]
	v_addc_co_u32_e64 v26, s[2:3], 0, 0, s[2:3]
	v_addc_co_u32_e64 v66, s[2:3], 0, 0, vcc
	v_lshrrev_b32_e32 v35, 16, v19
	s_movk_i32 s2, 0x3aee
	s_mov_b32 s3, 0xbaee
	v_lshrrev_b32_e32 v62, 16, v21
	v_lshrrev_b32_e32 v68, 16, v24
	v_lshrrev_b32_e32 v40, 16, v20
	v_lshrrev_b32_e32 v69, 16, v17
	s_waitcnt vmcnt(0)
	s_barrier
	v_mul_f16_sdwa v72, v38, v9 dst_sel:DWORD dst_unused:UNUSED_PAD src0_sel:DWORD src1_sel:WORD_1
	v_mul_f16_sdwa v74, v39, v10 dst_sel:DWORD dst_unused:UNUSED_PAD src0_sel:DWORD src1_sel:WORD_1
	;; [unrolled: 1-line block ×4, first 2 shown]
	v_fma_f16 v18, v18, v9, -v72
	v_fma_f16 v23, v23, v10, -v74
	v_mul_f16_sdwa v72, v70, v13 dst_sel:DWORD dst_unused:UNUSED_PAD src0_sel:DWORD src1_sel:WORD_1
	v_mul_f16_sdwa v74, v71, v14 dst_sel:DWORD dst_unused:UNUSED_PAD src0_sel:DWORD src1_sel:WORD_1
	v_fma_f16 v38, v38, v9, v73
	v_fma_f16 v39, v39, v10, v75
	v_mul_f16_sdwa v73, v22, v13 dst_sel:DWORD dst_unused:UNUSED_PAD src0_sel:DWORD src1_sel:WORD_1
	v_mul_f16_sdwa v75, v29, v14 dst_sel:DWORD dst_unused:UNUSED_PAD src0_sel:DWORD src1_sel:WORD_1
	v_fma_f16 v22, v22, v13, -v72
	v_fma_f16 v29, v29, v14, -v74
	v_mul_f16_sdwa v72, v32, v15 dst_sel:DWORD dst_unused:UNUSED_PAD src0_sel:DWORD src1_sel:WORD_1
	v_mul_f16_sdwa v74, v34, v16 dst_sel:DWORD dst_unused:UNUSED_PAD src0_sel:DWORD src1_sel:WORD_1
	v_fma_f16 v70, v70, v13, v73
	v_mul_f16_sdwa v73, v30, v15 dst_sel:DWORD dst_unused:UNUSED_PAD src0_sel:DWORD src1_sel:WORD_1
	v_fma_f16 v30, v30, v15, -v72
	v_fma_f16 v72, v31, v16, -v74
	v_mul_f16_sdwa v31, v31, v16 dst_sel:DWORD dst_unused:UNUSED_PAD src0_sel:DWORD src1_sel:WORD_1
	v_fma_f16 v31, v34, v16, v31
	v_add_f16_e32 v34, v19, v18
	v_fma_f16 v32, v32, v15, v73
	v_add_f16_e32 v73, v34, v23
	v_add_f16_e32 v34, v18, v23
	v_fma_f16 v19, v34, -0.5, v19
	v_sub_f16_e32 v34, v38, v39
	v_fma_f16 v74, v34, s2, v19
	v_fma_f16 v19, v34, s3, v19
	v_add_f16_e32 v34, v35, v38
	v_mul_f16_sdwa v76, v62, v11 dst_sel:DWORD dst_unused:UNUSED_PAD src0_sel:DWORD src1_sel:WORD_1
	v_fma_f16 v71, v71, v14, v75
	v_add_f16_e32 v75, v34, v39
	v_add_f16_e32 v34, v38, v39
	v_mul_f16_sdwa v77, v21, v11 dst_sel:DWORD dst_unused:UNUSED_PAD src0_sel:DWORD src1_sel:WORD_1
	v_mul_f16_sdwa v78, v68, v12 dst_sel:DWORD dst_unused:UNUSED_PAD src0_sel:DWORD src1_sel:WORD_1
	v_fma_f16 v21, v21, v11, -v76
	v_fma_f16 v34, v34, -0.5, v35
	v_sub_f16_e32 v18, v18, v23
	v_mul_f16_sdwa v79, v24, v12 dst_sel:DWORD dst_unused:UNUSED_PAD src0_sel:DWORD src1_sel:WORD_1
	v_fma_f16 v24, v24, v12, -v78
	v_fma_f16 v23, v18, s3, v34
	v_fma_f16 v18, v18, s2, v34
	v_add_f16_e32 v34, v20, v21
	v_fma_f16 v62, v62, v11, v77
	v_fma_f16 v68, v68, v12, v79
	v_add_f16_e32 v76, v34, v24
	v_add_f16_e32 v34, v21, v24
	v_fma_f16 v20, v34, -0.5, v20
	v_sub_f16_e32 v34, v62, v68
	v_fma_f16 v77, v34, s2, v20
	v_fma_f16 v20, v34, s3, v20
	v_add_f16_e32 v34, v40, v62
	v_add_f16_e32 v78, v34, v68
	v_add_f16_e32 v34, v62, v68
	v_fma_f16 v34, v34, -0.5, v40
	v_sub_f16_e32 v21, v21, v24
	v_fma_f16 v24, v21, s3, v34
	v_fma_f16 v21, v21, s2, v34
	v_add_f16_e32 v34, v17, v22
	;; [unrolled: 7-line block ×3, first 2 shown]
	v_add_f16_e32 v80, v34, v71
	v_add_f16_e32 v34, v70, v71
	v_fma_f16 v34, v34, -0.5, v69
	v_sub_f16_e32 v22, v22, v29
	v_add_f16_e32 v35, v30, v72
	v_fma_f16 v29, v22, s3, v34
	v_fma_f16 v22, v22, s2, v34
	v_add_f16_e32 v34, v27, v30
	v_fma_f16 v27, v35, -0.5, v27
	v_sub_f16_e32 v35, v32, v31
	v_fma_f16 v38, v35, s2, v27
	v_fma_f16 v39, v35, s3, v27
	v_add_f16_e32 v27, v28, v32
	v_add_f16_e32 v35, v27, v31
	;; [unrolled: 1-line block ×3, first 2 shown]
	v_fma_f16 v27, v27, -0.5, v28
	v_sub_f16_e32 v28, v30, v72
	v_fma_f16 v62, v28, s3, v27
	v_fma_f16 v40, v28, s2, v27
	v_mul_u32_u24_e32 v27, 0x96, v58
	s_movk_i32 s2, 0x96
	v_add_lshl_u32 v59, v27, v59, 2
	v_pack_b32_f16 v18, v19, v18
	ds_write_b32 v59, v18 offset:400
	v_mad_legacy_u16 v18, v60, s2, v61
	v_pack_b32_f16 v27, v73, v75
	v_pack_b32_f16 v23, v74, v23
	v_lshlrev_b32_e32 v60, 2, v18
	v_pack_b32_f16 v18, v76, v78
	v_pack_b32_f16 v19, v77, v24
	ds_write2_b32 v59, v27, v23 offset1:50
	ds_write2_b32 v60, v18, v19 offset1:50
	v_pack_b32_f16 v18, v20, v21
	ds_write_b32 v60, v18 offset:400
	v_mad_legacy_u16 v18, v63, s2, v64
	v_add_f16_e32 v34, v34, v72
	v_lshlrev_b32_e32 v61, 2, v18
	v_pack_b32_f16 v18, v68, v80
	v_pack_b32_f16 v19, v79, v29
	;; [unrolled: 1-line block ×3, first 2 shown]
	v_lshlrev_b32_e32 v58, 2, v67
	ds_write2_b32 v61, v18, v19 offset1:50
	ds_write_b32 v61, v17 offset:400
	s_and_saveexec_b64 s[2:3], s[0:1]
	s_cbranch_execz .LBB0_5
; %bb.4:
	s_mov_b32 s4, 0x5040100
	v_perm_b32 v17, v35, v34, s4
	v_perm_b32 v18, v62, v38, s4
	v_add_u32_e32 v19, 0x1000, v58
	ds_write2_b32 v19, v17, v18 offset0:176 offset1:226
	v_perm_b32 v17, v40, v39, s4
	ds_write_b32 v58, v17 offset:5200
.LBB0_5:
	s_or_b64 exec, exec, s[2:3]
	v_add_u32_e32 v17, 0x400, v47
	s_waitcnt lgkmcnt(0)
	s_barrier
	ds_read2_b32 v[29:30], v17 offset0:14 offset1:194
	v_add_u32_e32 v17, 0xe00, v47
	ds_read2_b32 v[20:21], v17 offset0:4 offset1:139
	v_add_u32_e32 v17, 0x800, v47
	ds_read2_b32 v[31:32], v47 offset1:135
	ds_read2_b32 v[22:23], v17 offset0:73 offset1:208
	ds_read_b32 v24, v47 offset:4680
	s_and_saveexec_b64 s[2:3], s[0:1]
	s_cbranch_execz .LBB0_7
; %bb.6:
	ds_read_b32 v34, v47 offset:1620
	ds_read_b32 v38, v47 offset:3420
	;; [unrolled: 1-line block ×3, first 2 shown]
	s_waitcnt lgkmcnt(2)
	v_lshrrev_b32_e32 v35, 16, v34
	s_waitcnt lgkmcnt(1)
	v_lshrrev_b32_e32 v62, 16, v38
	;; [unrolled: 2-line block ×3, first 2 shown]
.LBB0_7:
	s_or_b64 exec, exec, s[2:3]
	v_lshlrev_b32_e32 v17, 3, v50
	v_add_co_u32_e32 v27, vcc, s14, v17
	global_load_dwordx2 v[17:18], v17, s[14:15] offset:580
	s_waitcnt lgkmcnt(4)
	v_lshrrev_b32_e32 v19, 16, v30
	s_waitcnt lgkmcnt(3)
	v_lshrrev_b32_e32 v63, 16, v20
	v_mov_b32_e32 v74, s15
	v_addc_co_u32_e32 v28, vcc, 0, v74, vcc
	s_waitcnt lgkmcnt(1)
	v_lshrrev_b32_e32 v69, 16, v22
	v_lshrrev_b32_e32 v70, 16, v21
	;; [unrolled: 1-line block ×3, first 2 shown]
	s_waitcnt lgkmcnt(0)
	v_lshrrev_b32_e32 v73, 16, v24
	v_lshrrev_b32_e32 v67, 16, v31
	v_lshrrev_b32_e32 v68, 16, v32
	v_lshrrev_b32_e32 v71, 16, v29
	s_waitcnt vmcnt(0)
	v_mul_f16_sdwa v64, v19, v17 dst_sel:DWORD dst_unused:UNUSED_PAD src0_sel:DWORD src1_sel:WORD_1
	v_fma_f16 v75, v30, v17, -v64
	v_mul_f16_sdwa v30, v30, v17 dst_sel:DWORD dst_unused:UNUSED_PAD src0_sel:DWORD src1_sel:WORD_1
	v_fma_f16 v30, v19, v17, v30
	v_mul_f16_sdwa v19, v63, v18 dst_sel:DWORD dst_unused:UNUSED_PAD src0_sel:DWORD src1_sel:WORD_1
	v_fma_f16 v76, v20, v18, -v19
	v_mul_f16_sdwa v19, v20, v18 dst_sel:DWORD dst_unused:UNUSED_PAD src0_sel:DWORD src1_sel:WORD_1
	v_fma_f16 v77, v63, v18, v19
	v_add_co_u32_e32 v19, vcc, -15, v50
	v_addc_co_u32_e64 v20, s[2:3], 0, -1, vcc
	v_cmp_gt_u16_e32 vcc, 15, v50
	v_cndmask_b32_e32 v64, v20, v33, vcc
	v_cndmask_b32_e32 v63, v19, v56, vcc
	v_lshlrev_b64 v[19:20], 3, v[63:64]
	v_add_f16_e32 v81, v75, v76
	v_add_co_u32_e32 v19, vcc, s14, v19
	v_addc_co_u32_e32 v20, vcc, v74, v20, vcc
	global_load_dwordx2 v[19:20], v[19:20], off offset:580
	s_movk_i32 s2, 0x3aee
	s_mov_b32 s3, 0xbaee
	s_waitcnt vmcnt(0)
	v_mul_f16_sdwa v33, v69, v19 dst_sel:DWORD dst_unused:UNUSED_PAD src0_sel:DWORD src1_sel:WORD_1
	v_fma_f16 v33, v22, v19, -v33
	v_mul_f16_sdwa v22, v22, v19 dst_sel:DWORD dst_unused:UNUSED_PAD src0_sel:DWORD src1_sel:WORD_1
	v_fma_f16 v64, v69, v19, v22
	v_mul_f16_sdwa v22, v70, v20 dst_sel:DWORD dst_unused:UNUSED_PAD src0_sel:DWORD src1_sel:WORD_1
	v_fma_f16 v69, v21, v20, -v22
	v_mul_f16_sdwa v21, v21, v20 dst_sel:DWORD dst_unused:UNUSED_PAD src0_sel:DWORD src1_sel:WORD_1
	v_fma_f16 v70, v70, v20, v21
	v_mul_u32_u24_e32 v21, 0xda75, v37
	v_lshrrev_b32_e32 v37, 22, v21
	v_mul_lo_u16_e32 v21, 0x96, v37
	v_sub_u16_e32 v78, v25, v21
	v_lshlrev_b16_e32 v21, 3, v78
	v_add_co_u32_e32 v21, vcc, s14, v21
	v_addc_co_u32_e32 v22, vcc, 0, v74, vcc
	global_load_dwordx2 v[21:22], v[21:22], off offset:580
	s_waitcnt vmcnt(0)
	v_mul_f16_sdwa v79, v72, v21 dst_sel:DWORD dst_unused:UNUSED_PAD src0_sel:DWORD src1_sel:WORD_1
	v_fma_f16 v79, v23, v21, -v79
	v_mul_f16_sdwa v23, v23, v21 dst_sel:DWORD dst_unused:UNUSED_PAD src0_sel:DWORD src1_sel:WORD_1
	v_fma_f16 v72, v72, v21, v23
	v_mul_f16_sdwa v23, v73, v22 dst_sel:DWORD dst_unused:UNUSED_PAD src0_sel:DWORD src1_sel:WORD_1
	v_fma_f16 v80, v24, v22, -v23
	v_mul_f16_sdwa v23, v24, v22 dst_sel:DWORD dst_unused:UNUSED_PAD src0_sel:DWORD src1_sel:WORD_1
	v_fma_f16 v73, v73, v22, v23
	v_mul_u32_u24_e32 v23, 0xda75, v36
	v_lshrrev_b32_e32 v23, 22, v23
	v_mul_lo_u16_e32 v23, 0x96, v23
	v_sub_u16_e32 v36, v65, v23
	v_lshlrev_b16_e32 v23, 3, v36
	v_add_co_u32_e32 v23, vcc, s14, v23
	v_addc_co_u32_e32 v24, vcc, 0, v74, vcc
	global_load_dwordx2 v[23:24], v[23:24], off offset:580
	s_waitcnt vmcnt(0)
	s_barrier
	v_cmp_lt_u16_e32 vcc, 14, v50
	v_mul_f16_sdwa v74, v62, v23 dst_sel:DWORD dst_unused:UNUSED_PAD src0_sel:DWORD src1_sel:WORD_1
	v_fma_f16 v74, v38, v23, -v74
	v_mul_f16_sdwa v38, v38, v23 dst_sel:DWORD dst_unused:UNUSED_PAD src0_sel:DWORD src1_sel:WORD_1
	v_fma_f16 v38, v62, v23, v38
	v_mul_f16_sdwa v62, v40, v24 dst_sel:DWORD dst_unused:UNUSED_PAD src0_sel:DWORD src1_sel:WORD_1
	v_fma_f16 v62, v39, v24, -v62
	v_mul_f16_sdwa v39, v39, v24 dst_sel:DWORD dst_unused:UNUSED_PAD src0_sel:DWORD src1_sel:WORD_1
	v_fma_f16 v39, v40, v24, v39
	v_add_f16_e32 v40, v31, v75
	v_fma_f16 v31, v81, -0.5, v31
	v_sub_f16_e32 v81, v30, v77
	v_fma_f16 v82, v81, s2, v31
	v_fma_f16 v31, v81, s3, v31
	v_add_f16_e32 v81, v67, v30
	v_add_f16_e32 v30, v30, v77
	v_fma_f16 v30, v30, -0.5, v67
	v_sub_f16_e32 v67, v75, v76
	v_fma_f16 v75, v67, s3, v30
	v_fma_f16 v30, v67, s2, v30
	v_add_f16_e32 v67, v32, v33
	v_add_f16_e32 v40, v40, v76
	;; [unrolled: 1-line block ×4, first 2 shown]
	v_fma_f16 v32, v67, -0.5, v32
	v_sub_f16_e32 v67, v64, v70
	v_add_f16_e32 v81, v81, v77
	v_fma_f16 v77, v67, s2, v32
	v_fma_f16 v32, v67, s3, v32
	v_add_f16_e32 v67, v68, v64
	v_add_f16_e32 v64, v64, v70
	v_fma_f16 v64, v64, -0.5, v68
	v_sub_f16_e32 v33, v33, v69
	v_fma_f16 v84, v33, s3, v64
	v_fma_f16 v33, v33, s2, v64
	v_add_f16_e32 v64, v29, v79
	v_add_f16_e32 v85, v64, v80
	;; [unrolled: 1-line block ×3, first 2 shown]
	v_fma_f16 v29, v64, -0.5, v29
	v_sub_f16_e32 v64, v72, v73
	v_fma_f16 v86, v64, s2, v29
	v_fma_f16 v29, v64, s3, v29
	v_add_f16_e32 v64, v71, v72
	v_add_f16_e32 v87, v64, v73
	;; [unrolled: 1-line block ×4, first 2 shown]
	v_fma_f16 v64, v64, -0.5, v71
	v_sub_f16_e32 v67, v79, v80
	v_fma_f16 v73, v67, s3, v64
	v_fma_f16 v79, v67, s2, v64
	v_add_f16_e32 v64, v34, v74
	v_add_f16_e32 v67, v64, v62
	;; [unrolled: 1-line block ×3, first 2 shown]
	v_fma_f16 v34, v64, -0.5, v34
	v_sub_f16_e32 v64, v38, v39
	v_fma_f16 v69, v64, s2, v34
	v_fma_f16 v70, v64, s3, v34
	v_add_f16_e32 v34, v35, v38
	v_pack_b32_f16 v30, v31, v30
	v_add_f16_e32 v68, v34, v39
	v_add_f16_e32 v34, v38, v39
	ds_write_b32 v47, v30 offset:1200
	v_mov_b32_e32 v30, 0x1c2
	v_fma_f16 v34, v34, -0.5, v35
	v_sub_f16_e32 v35, v74, v62
	v_cndmask_b32_e32 v30, 0, v30, vcc
	v_fma_f16 v71, v35, s3, v34
	v_fma_f16 v72, v35, s2, v34
	v_pack_b32_f16 v34, v40, v81
	v_pack_b32_f16 v35, v82, v75
	v_add_lshl_u32 v63, v63, v30, 2
	v_pack_b32_f16 v30, v76, v83
	v_pack_b32_f16 v31, v77, v84
	ds_write2_b32 v47, v34, v35 offset1:150
	s_movk_i32 s2, 0x1c2
	ds_write2_b32 v63, v30, v31 offset1:150
	v_pack_b32_f16 v30, v32, v33
	ds_write_b32 v63, v30 offset:1200
	v_mad_legacy_u16 v30, v37, s2, v78
	v_lshlrev_b32_e32 v64, 2, v30
	v_pack_b32_f16 v30, v85, v87
	v_pack_b32_f16 v31, v86, v73
	;; [unrolled: 1-line block ×3, first 2 shown]
	v_lshlrev_b32_e32 v62, 2, v36
	ds_write2_b32 v64, v30, v31 offset1:150
	ds_write_b32 v64, v29 offset:1200
	s_and_saveexec_b64 s[2:3], s[0:1]
	s_cbranch_execz .LBB0_9
; %bb.8:
	s_mov_b32 s4, 0x5040100
	v_perm_b32 v29, v68, v67, s4
	v_perm_b32 v30, v71, v69, s4
	v_add_u32_e32 v31, 0xe00, v62
	ds_write2_b32 v31, v29, v30 offset0:4 offset1:154
	v_perm_b32 v29, v72, v70, s4
	ds_write_b32 v62, v29 offset:4800
.LBB0_9:
	s_or_b64 exec, exec, s[2:3]
	v_add_u32_e32 v29, 0x400, v47
	s_waitcnt lgkmcnt(0)
	s_barrier
	ds_read2_b32 v[33:34], v29 offset0:14 offset1:194
	v_add_u32_e32 v29, 0xe00, v47
	v_add_u32_e32 v73, 0x800, v47
	ds_read2_b32 v[35:36], v47 offset1:135
	ds_read2_b32 v[39:40], v29 offset0:4 offset1:139
	ds_read2_b32 v[37:38], v73 offset0:73 offset1:208
	ds_read_b32 v74, v47 offset:4680
	s_and_saveexec_b64 s[2:3], s[0:1]
	s_cbranch_execz .LBB0_11
; %bb.10:
	ds_read_b32 v67, v47 offset:1620
	ds_read_b32 v69, v47 offset:3420
	;; [unrolled: 1-line block ×3, first 2 shown]
	s_waitcnt lgkmcnt(2)
	v_lshrrev_b32_e32 v68, 16, v67
	s_waitcnt lgkmcnt(1)
	v_lshrrev_b32_e32 v71, 16, v69
	;; [unrolled: 2-line block ×3, first 2 shown]
.LBB0_11:
	s_or_b64 exec, exec, s[2:3]
	v_lshlrev_b64 v[25:26], 3, v[25:26]
	v_lshlrev_b32_e32 v29, 3, v56
	v_mov_b32_e32 v56, s15
	v_add_co_u32_e32 v25, vcc, s14, v25
	v_addc_co_u32_e32 v26, vcc, v56, v26, vcc
	s_movk_i32 s2, 0xffd3
	global_load_dwordx2 v[27:28], v[27:28], off offset:1780
	s_waitcnt lgkmcnt(1)
	v_lshrrev_b32_e32 v76, 16, v37
	global_load_dwordx2 v[31:32], v[25:26], off offset:1780
	v_add_co_u32_e32 v25, vcc, s2, v50
	global_load_dwordx2 v[29:30], v29, s[14:15] offset:1780
	v_addc_co_u32_e64 v26, s[2:3], 0, -1, vcc
	v_cndmask_b32_e64 v25, v25, v65, s[0:1]
	v_cndmask_b32_e64 v26, v26, v66, s[0:1]
	v_lshlrev_b64 v[25:26], 3, v[25:26]
	v_lshrrev_b32_e32 v65, 16, v34
	v_add_co_u32_e32 v25, vcc, s14, v25
	v_addc_co_u32_e32 v26, vcc, v56, v26, vcc
	global_load_dwordx2 v[25:26], v[25:26], off offset:1780
	v_lshrrev_b32_e32 v66, 16, v39
	v_lshrrev_b32_e32 v77, 16, v40
	;; [unrolled: 1-line block ×3, first 2 shown]
	s_movk_i32 s2, 0x3aee
	s_mov_b32 s3, 0xbaee
	v_lshrrev_b32_e32 v75, 16, v36
	v_lshrrev_b32_e32 v79, 16, v38
	s_waitcnt lgkmcnt(0)
	v_lshrrev_b32_e32 v80, 16, v74
	v_lshrrev_b32_e32 v78, 16, v33
	s_waitcnt vmcnt(3)
	v_mul_f16_sdwa v81, v65, v27 dst_sel:DWORD dst_unused:UNUSED_PAD src0_sel:DWORD src1_sel:WORD_1
	v_mul_f16_sdwa v82, v34, v27 dst_sel:DWORD dst_unused:UNUSED_PAD src0_sel:DWORD src1_sel:WORD_1
	;; [unrolled: 1-line block ×4, first 2 shown]
	v_fma_f16 v34, v34, v27, -v81
	v_fma_f16 v65, v65, v27, v82
	v_fma_f16 v39, v39, v28, -v83
	v_fma_f16 v66, v66, v28, v84
	s_waitcnt vmcnt(1)
	v_mul_f16_sdwa v81, v76, v29 dst_sel:DWORD dst_unused:UNUSED_PAD src0_sel:DWORD src1_sel:WORD_1
	v_mul_f16_sdwa v83, v77, v30 dst_sel:DWORD dst_unused:UNUSED_PAD src0_sel:DWORD src1_sel:WORD_1
	;; [unrolled: 1-line block ×4, first 2 shown]
	v_fma_f16 v37, v37, v29, -v81
	v_fma_f16 v81, v40, v30, -v83
	v_fma_f16 v40, v77, v30, v84
	v_add_f16_e32 v77, v35, v34
	v_sub_f16_e32 v83, v65, v66
	v_add_f16_e32 v84, v56, v65
	v_add_f16_e32 v65, v65, v66
	v_fma_f16 v76, v76, v29, v82
	v_add_f16_e32 v82, v34, v39
	v_sub_f16_e32 v34, v34, v39
	v_add_f16_e32 v77, v77, v39
	v_fma_f16 v39, v65, -0.5, v56
	v_add_f16_e32 v65, v37, v81
	v_fma_f16 v35, v82, -0.5, v35
	v_sub_f16_e32 v82, v76, v40
	v_mul_f16_sdwa v86, v38, v31 dst_sel:DWORD dst_unused:UNUSED_PAD src0_sel:DWORD src1_sel:WORD_1
	v_mul_f16_sdwa v88, v74, v32 dst_sel:DWORD dst_unused:UNUSED_PAD src0_sel:DWORD src1_sel:WORD_1
	v_fma_f16 v90, v34, s3, v39
	v_fma_f16 v91, v34, s2, v39
	v_fma_f16 v34, v65, -0.5, v36
	v_add_f16_e32 v66, v84, v66
	v_add_f16_e32 v56, v36, v37
	;; [unrolled: 1-line block ×4, first 2 shown]
	v_mul_f16_sdwa v85, v79, v31 dst_sel:DWORD dst_unused:UNUSED_PAD src0_sel:DWORD src1_sel:WORD_1
	v_mul_f16_sdwa v87, v80, v32 dst_sel:DWORD dst_unused:UNUSED_PAD src0_sel:DWORD src1_sel:WORD_1
	v_fma_f16 v36, v79, v31, v86
	v_fma_f16 v79, v80, v32, v88
	;; [unrolled: 1-line block ×4, first 2 shown]
	s_waitcnt vmcnt(0)
	v_mul_f16_sdwa v34, v71, v25 dst_sel:DWORD dst_unused:UNUSED_PAD src0_sel:DWORD src1_sel:WORD_1
	v_fma_f16 v89, v83, s2, v35
	v_fma_f16 v83, v83, s3, v35
	v_fma_f16 v35, v38, v31, -v85
	v_fma_f16 v38, v69, v25, -v34
	v_fma_f16 v34, v76, -0.5, v75
	v_sub_f16_e32 v37, v37, v81
	v_add_f16_e32 v92, v56, v81
	v_fma_f16 v74, v74, v32, -v87
	v_mul_f16_sdwa v39, v69, v25 dst_sel:DWORD dst_unused:UNUSED_PAD src0_sel:DWORD src1_sel:WORD_1
	v_mul_f16_sdwa v56, v72, v26 dst_sel:DWORD dst_unused:UNUSED_PAD src0_sel:DWORD src1_sel:WORD_1
	v_fma_f16 v69, v37, s3, v34
	v_fma_f16 v37, v37, s2, v34
	v_add_f16_e32 v34, v33, v35
	v_add_f16_e32 v65, v84, v40
	v_mul_f16_sdwa v84, v70, v26 dst_sel:DWORD dst_unused:UNUSED_PAD src0_sel:DWORD src1_sel:WORD_1
	v_fma_f16 v40, v71, v25, v39
	v_fma_f16 v39, v70, v26, -v56
	v_add_f16_e32 v70, v34, v74
	v_add_f16_e32 v34, v35, v74
	v_fma_f16 v33, v34, -0.5, v33
	v_sub_f16_e32 v34, v36, v79
	v_fma_f16 v56, v72, v26, v84
	v_fma_f16 v71, v34, s2, v33
	;; [unrolled: 1-line block ×3, first 2 shown]
	v_add_f16_e32 v33, v78, v36
	v_add_f16_e32 v75, v33, v79
	;; [unrolled: 1-line block ×3, first 2 shown]
	v_fma_f16 v33, v33, -0.5, v78
	v_sub_f16_e32 v34, v35, v74
	v_fma_f16 v74, v34, s3, v33
	v_fma_f16 v76, v34, s2, v33
	v_add_f16_e32 v33, v38, v39
	v_pack_b32_f16 v66, v77, v66
	v_pack_b32_f16 v77, v89, v90
	v_fma_f16 v34, v33, -0.5, v67
	v_sub_f16_e32 v35, v40, v56
	ds_write_b32 v47, v77 offset:1800
	v_pack_b32_f16 v77, v83, v91
	v_pack_b32_f16 v65, v92, v65
	v_fma_f16 v33, v35, s2, v34
	v_fma_f16 v34, v35, s3, v34
	v_add_f16_e32 v35, v40, v56
	ds_write_b32 v47, v77 offset:3600
	ds_write2_b32 v47, v66, v65 offset1:135
	v_pack_b32_f16 v66, v82, v37
	v_pack_b32_f16 v37, v70, v75
	v_fma_f16 v35, v35, -0.5, v68
	v_sub_f16_e32 v78, v38, v39
	v_pack_b32_f16 v65, v80, v69
	ds_write_b32 v47, v37 offset:1080
	v_pack_b32_f16 v37, v71, v74
	v_fma_f16 v36, v78, s3, v35
	v_fma_f16 v35, v78, s2, v35
	ds_write2_b32 v73, v65, v37 offset0:73 offset1:208
	v_pack_b32_f16 v65, v72, v76
	v_add_u32_e32 v37, 0x1000, v47
	ds_write2_b32 v37, v66, v65 offset0:11 offset1:146
	s_and_saveexec_b64 s[2:3], s[0:1]
	s_cbranch_execz .LBB0_13
; %bb.12:
	v_add_f16_e32 v40, v68, v40
	v_add_f16_e32 v38, v67, v38
	;; [unrolled: 1-line block ×4, first 2 shown]
	v_pack_b32_f16 v38, v38, v40
	s_mov_b32 s4, 0x5040100
	ds_write_b32 v47, v38 offset:1620
	v_perm_b32 v38, v36, v33, s4
	ds_write_b32 v47, v38 offset:3420
	v_perm_b32 v38, v35, v34, s4
	ds_write_b32 v47, v38 offset:5220
.LBB0_13:
	s_or_b64 exec, exec, s[2:3]
	v_lshlrev_b32_e32 v38, 2, v50
	v_mov_b32_e32 v39, s13
	v_add_co_u32_e32 v40, vcc, s12, v38
	v_addc_co_u32_e32 v56, vcc, 0, v39, vcc
	v_add_co_u32_e32 v38, vcc, 0x1518, v40
	v_addc_co_u32_e32 v39, vcc, 0, v56, vcc
	v_add_co_u32_e32 v65, vcc, 0x1000, v40
	v_addc_co_u32_e32 v66, vcc, 0, v56, vcc
	s_waitcnt lgkmcnt(0)
	s_barrier
	global_load_dword v67, v[65:66], off offset:1304
	global_load_dword v71, v[38:39], off offset:3780
	global_load_dword v72, v[38:39], off offset:2700
	global_load_dword v73, v[38:39], off offset:1620
	global_load_dword v68, v[38:39], off offset:540
	global_load_dword v74, v[38:39], off offset:1080
	global_load_dword v75, v[38:39], off offset:2160
	global_load_dword v76, v[38:39], off offset:3240
	s_movk_i32 s2, 0x2000
	v_add_co_u32_e32 v38, vcc, s2, v40
	v_addc_co_u32_e32 v39, vcc, 0, v56, vcc
	global_load_dword v40, v[38:39], off offset:1528
	global_load_dword v56, v[38:39], off offset:2068
	ds_read2_b32 v[38:39], v47 offset1:135
	v_add_u32_e32 v77, 0x400, v47
	v_add_u32_e32 v78, 0x800, v47
	;; [unrolled: 1-line block ×4, first 2 shown]
	s_waitcnt lgkmcnt(0)
	v_lshrrev_b32_e32 v65, 16, v38
	v_lshrrev_b32_e32 v66, 16, v39
	v_add_u32_e32 v81, 0x600, v47
	v_add_u32_e32 v82, 0xa00, v47
	s_movk_i32 s2, 0x3b9c
	s_movk_i32 s3, 0x38b4
	s_mov_b32 s5, 0xffff
	s_movk_i32 s4, 0x34f2
	s_mov_b32 s12, 0xb8b4
	s_waitcnt vmcnt(9)
	v_mul_f16_sdwa v69, v65, v67 dst_sel:DWORD dst_unused:UNUSED_PAD src0_sel:DWORD src1_sel:WORD_1
	v_mul_f16_sdwa v70, v38, v67 dst_sel:DWORD dst_unused:UNUSED_PAD src0_sel:DWORD src1_sel:WORD_1
	v_fma_f16 v38, v38, v67, -v69
	v_fma_f16 v65, v65, v67, v70
	s_waitcnt vmcnt(5)
	v_mul_f16_sdwa v83, v66, v68 dst_sel:DWORD dst_unused:UNUSED_PAD src0_sel:DWORD src1_sel:WORD_1
	v_mul_f16_sdwa v84, v39, v68 dst_sel:DWORD dst_unused:UNUSED_PAD src0_sel:DWORD src1_sel:WORD_1
	v_pack_b32_f16 v38, v38, v65
	v_fma_f16 v67, v39, v68, -v83
	v_fma_f16 v66, v66, v68, v84
	ds_write_b32 v47, v38
	ds_read2_b32 v[38:39], v77 offset0:14 offset1:149
	v_pack_b32_f16 v83, v67, v66
	ds_read2_b32 v[65:66], v78 offset0:28 offset1:163
	ds_read2_b32 v[67:68], v79 offset0:42 offset1:177
	;; [unrolled: 1-line block ×3, first 2 shown]
	s_waitcnt lgkmcnt(3)
	v_lshrrev_b32_e32 v84, 16, v38
	s_waitcnt vmcnt(4)
	v_mul_f16_sdwa v85, v38, v74 dst_sel:DWORD dst_unused:UNUSED_PAD src0_sel:DWORD src1_sel:WORD_1
	s_waitcnt lgkmcnt(2)
	v_lshrrev_b32_e32 v86, 16, v65
	s_waitcnt vmcnt(3)
	v_mul_f16_sdwa v87, v65, v75 dst_sel:DWORD dst_unused:UNUSED_PAD src0_sel:DWORD src1_sel:WORD_1
	;; [unrolled: 4-line block ×4, first 2 shown]
	v_lshrrev_b32_e32 v92, 16, v39
	v_mul_f16_sdwa v93, v39, v73 dst_sel:DWORD dst_unused:UNUSED_PAD src0_sel:DWORD src1_sel:WORD_1
	v_lshrrev_b32_e32 v94, 16, v66
	v_mul_f16_sdwa v97, v84, v74 dst_sel:DWORD dst_unused:UNUSED_PAD src0_sel:DWORD src1_sel:WORD_1
	v_fma_f16 v84, v84, v74, v85
	v_mul_f16_sdwa v85, v86, v75 dst_sel:DWORD dst_unused:UNUSED_PAD src0_sel:DWORD src1_sel:WORD_1
	v_fma_f16 v86, v86, v75, v87
	v_mul_f16_sdwa v87, v88, v76 dst_sel:DWORD dst_unused:UNUSED_PAD src0_sel:DWORD src1_sel:WORD_1
	v_fma_f16 v88, v88, v76, v89
	v_mul_f16_sdwa v89, v90, v40 dst_sel:DWORD dst_unused:UNUSED_PAD src0_sel:DWORD src1_sel:WORD_1
	v_fma_f16 v90, v90, v40, v91
	v_mul_f16_sdwa v91, v92, v73 dst_sel:DWORD dst_unused:UNUSED_PAD src0_sel:DWORD src1_sel:WORD_1
	v_mul_f16_sdwa v95, v66, v72 dst_sel:DWORD dst_unused:UNUSED_PAD src0_sel:DWORD src1_sel:WORD_1
	v_fma_f16 v92, v92, v73, v93
	v_mul_f16_sdwa v93, v94, v72 dst_sel:DWORD dst_unused:UNUSED_PAD src0_sel:DWORD src1_sel:WORD_1
	v_fma_f16 v38, v38, v74, -v97
	v_fma_f16 v39, v39, v73, -v91
	v_lshrrev_b32_e32 v96, 16, v68
	v_fma_f16 v94, v94, v72, v95
	v_fma_f16 v65, v65, v75, -v85
	v_fma_f16 v67, v67, v76, -v87
	;; [unrolled: 1-line block ×3, first 2 shown]
	v_pack_b32_f16 v38, v38, v84
	v_pack_b32_f16 v39, v39, v92
	v_mul_f16_sdwa v95, v96, v71 dst_sel:DWORD dst_unused:UNUSED_PAD src0_sel:DWORD src1_sel:WORD_1
	v_pack_b32_f16 v65, v65, v86
	v_pack_b32_f16 v67, v67, v88
	v_pack_b32_f16 v66, v66, v94
	ds_write2_b32 v80, v83, v38 offset0:7 offset1:142
	ds_write2_b32 v81, v39, v65 offset0:21 offset1:156
	ds_write2_b32 v82, v66, v67 offset0:35 offset1:170
	v_mul_f16_sdwa v39, v68, v71 dst_sel:DWORD dst_unused:UNUSED_PAD src0_sel:DWORD src1_sel:WORD_1
	v_fma_f16 v40, v69, v40, -v89
	v_fma_f16 v38, v68, v71, -v95
	v_fma_f16 v39, v96, v71, v39
	v_pack_b32_f16 v40, v40, v90
	v_pack_b32_f16 v38, v38, v39
	v_add_u32_e32 v73, 0xe00, v47
	ds_write2_b32 v73, v38, v40 offset0:49 offset1:184
	v_lshrrev_b32_e32 v38, 16, v70
	s_waitcnt vmcnt(0)
	v_mul_f16_sdwa v39, v38, v56 dst_sel:DWORD dst_unused:UNUSED_PAD src0_sel:DWORD src1_sel:WORD_1
	v_mul_f16_sdwa v40, v70, v56 dst_sel:DWORD dst_unused:UNUSED_PAD src0_sel:DWORD src1_sel:WORD_1
	v_fma_f16 v39, v70, v56, -v39
	v_fma_f16 v38, v38, v56, v40
	v_pack_b32_f16 v38, v39, v38
	ds_write_b32 v47, v38 offset:4860
	s_waitcnt lgkmcnt(0)
	s_barrier
	ds_read2_b32 v[38:39], v47 offset1:135
	ds_read2_b32 v[65:66], v77 offset0:14 offset1:149
	ds_read2_b32 v[67:68], v78 offset0:28 offset1:163
	;; [unrolled: 1-line block ×4, first 2 shown]
	s_waitcnt lgkmcnt(0)
	v_pk_add_f16 v56, v38, v65
	v_pk_add_f16 v82, v65, v67 neg_lo:[0,1] neg_hi:[0,1]
	v_pk_add_f16 v74, v67, v69
	v_pk_add_f16 v75, v65, v71 neg_lo:[0,1] neg_hi:[0,1]
	v_pk_fma_f16 v74, v74, 0.5, v38 op_sel_hi:[1,0,1] neg_lo:[1,0,0] neg_hi:[1,0,0]
	v_pk_mul_f16 v76, v75, s2 op_sel_hi:[1,0]
	v_pk_add_f16 v80, v67, v69 neg_lo:[0,1] neg_hi:[0,1]
	v_pk_add_f16 v83, v71, v69 neg_lo:[0,1] neg_hi:[0,1]
	v_pk_mul_f16 v81, v80, s3 op_sel_hi:[1,0]
	v_pk_add_f16 v82, v82, v83
	v_pk_add_f16 v83, v74, v76 op_sel:[0,1] op_sel_hi:[1,0] neg_lo:[0,1] neg_hi:[0,1]
	v_pk_add_f16 v74, v74, v76 op_sel:[0,1] op_sel_hi:[1,0]
	v_pk_add_f16 v56, v56, v67
	v_pk_add_f16 v76, v83, v81 op_sel:[0,1] op_sel_hi:[1,0] neg_lo:[0,1] neg_hi:[0,1]
	v_pk_add_f16 v74, v74, v81 op_sel:[0,1] op_sel_hi:[1,0]
	v_pk_add_f16 v56, v56, v69
	v_bfi_b32 v81, s5, v76, v74
	v_pk_add_f16 v56, v56, v71
	v_pk_fma_f16 v81, v82, s4, v81 op_sel_hi:[1,0,1]
	s_barrier
	ds_write2_b32 v54, v56, v81 offset1:1
	v_pk_add_f16 v56, v65, v71
	v_pk_fma_f16 v38, v56, 0.5, v38 op_sel_hi:[1,0,1] neg_lo:[1,0,0] neg_hi:[1,0,0]
	v_pk_add_f16 v56, v67, v65 neg_lo:[0,1] neg_hi:[0,1]
	v_pk_add_f16 v65, v69, v71 neg_lo:[0,1] neg_hi:[0,1]
	v_pk_add_f16 v56, v56, v65
	v_pk_mul_f16 v65, v80, s2 op_sel_hi:[1,0]
	v_pk_mul_f16 v67, v75, s3 op_sel_hi:[1,0]
	v_pk_add_f16 v69, v38, v65 op_sel:[0,1] op_sel_hi:[1,0]
	v_pk_add_f16 v38, v38, v65 op_sel:[0,1] op_sel_hi:[1,0] neg_lo:[0,1] neg_hi:[0,1]
	v_pk_add_f16 v65, v69, v67 op_sel:[0,1] op_sel_hi:[1,0] neg_lo:[0,1] neg_hi:[0,1]
	v_pk_add_f16 v38, v38, v67 op_sel:[0,1] op_sel_hi:[1,0]
	v_bfi_b32 v67, s5, v65, v38
	v_bfi_b32 v38, s5, v38, v65
	v_pk_fma_f16 v67, v56, s4, v67 op_sel_hi:[1,0,1]
	v_pk_fma_f16 v38, v56, s4, v38 op_sel_hi:[1,0,1]
	ds_write2_b32 v54, v67, v38 offset0:2 offset1:3
	v_bfi_b32 v38, s5, v74, v76
	v_pk_fma_f16 v38, v82, s4, v38 op_sel_hi:[1,0,1]
	ds_write_b32 v54, v38 offset:16
	v_pk_add_f16 v38, v68, v70
	v_pk_add_f16 v54, v66, v72 neg_lo:[0,1] neg_hi:[0,1]
	v_pk_fma_f16 v38, v38, 0.5, v39 op_sel_hi:[1,0,1] neg_lo:[1,0,0] neg_hi:[1,0,0]
	v_pk_mul_f16 v56, v54, s2 op_sel_hi:[1,0]
	v_pk_add_f16 v65, v68, v70 neg_lo:[0,1] neg_hi:[0,1]
	v_pk_add_f16 v69, v66, v68 neg_lo:[0,1] neg_hi:[0,1]
	;; [unrolled: 1-line block ×3, first 2 shown]
	v_pk_add_f16 v40, v39, v66
	v_pk_mul_f16 v67, v65, s3 op_sel_hi:[1,0]
	v_pk_add_f16 v69, v69, v71
	v_pk_add_f16 v71, v38, v56 op_sel:[0,1] op_sel_hi:[1,0] neg_lo:[0,1] neg_hi:[0,1]
	v_pk_add_f16 v38, v38, v56 op_sel:[0,1] op_sel_hi:[1,0]
	v_pk_add_f16 v40, v40, v68
	v_pk_add_f16 v56, v71, v67 op_sel:[0,1] op_sel_hi:[1,0] neg_lo:[0,1] neg_hi:[0,1]
	v_pk_add_f16 v38, v38, v67 op_sel:[0,1] op_sel_hi:[1,0]
	v_pk_add_f16 v40, v40, v70
	v_bfi_b32 v67, s5, v56, v38
	v_pk_add_f16 v40, v40, v72
	v_pk_fma_f16 v67, v69, s4, v67 op_sel_hi:[1,0,1]
	ds_write2_b32 v53, v40, v67 offset1:1
	v_pk_add_f16 v40, v66, v72
	v_pk_fma_f16 v39, v40, 0.5, v39 op_sel_hi:[1,0,1] neg_lo:[1,0,0] neg_hi:[1,0,0]
	v_pk_add_f16 v40, v68, v66 neg_lo:[0,1] neg_hi:[0,1]
	v_pk_add_f16 v66, v70, v72 neg_lo:[0,1] neg_hi:[0,1]
	v_pk_mul_f16 v65, v65, s2 op_sel_hi:[1,0]
	v_pk_add_f16 v40, v40, v66
	v_pk_mul_f16 v54, v54, s3 op_sel_hi:[1,0]
	v_pk_add_f16 v66, v39, v65 op_sel:[0,1] op_sel_hi:[1,0]
	v_pk_add_f16 v39, v39, v65 op_sel:[0,1] op_sel_hi:[1,0] neg_lo:[0,1] neg_hi:[0,1]
	v_pk_add_f16 v65, v66, v54 op_sel:[0,1] op_sel_hi:[1,0] neg_lo:[0,1] neg_hi:[0,1]
	v_pk_add_f16 v39, v39, v54 op_sel:[0,1] op_sel_hi:[1,0]
	v_bfi_b32 v54, s5, v65, v39
	v_bfi_b32 v39, s5, v39, v65
	;; [unrolled: 1-line block ×3, first 2 shown]
	v_pk_fma_f16 v54, v40, s4, v54 op_sel_hi:[1,0,1]
	v_pk_fma_f16 v39, v40, s4, v39 op_sel_hi:[1,0,1]
	;; [unrolled: 1-line block ×3, first 2 shown]
	ds_write2_b32 v53, v54, v39 offset0:2 offset1:3
	ds_write_b32 v53, v38 offset:16
	s_waitcnt lgkmcnt(0)
	s_barrier
	ds_read2_b32 v[38:39], v47 offset1:135
	ds_read2_b32 v[53:54], v77 offset0:14 offset1:149
	ds_read2_b32 v[65:66], v78 offset0:28 offset1:163
	;; [unrolled: 1-line block ×4, first 2 shown]
	s_waitcnt lgkmcnt(4)
	v_lshrrev_b32_e32 v56, 16, v39
	v_mul_f16_sdwa v81, v0, v56 dst_sel:DWORD dst_unused:UNUSED_PAD src0_sel:WORD_1 src1_sel:DWORD
	s_waitcnt lgkmcnt(3)
	v_lshrrev_b32_e32 v71, 16, v53
	v_fma_f16 v81, v0, v39, v81
	v_mul_f16_sdwa v39, v0, v39 dst_sel:DWORD dst_unused:UNUSED_PAD src0_sel:WORD_1 src1_sel:DWORD
	v_fma_f16 v0, v0, v56, -v39
	v_mul_f16_sdwa v39, v1, v71 dst_sel:DWORD dst_unused:UNUSED_PAD src0_sel:WORD_1 src1_sel:DWORD
	v_lshrrev_b32_e32 v72, 16, v54
	v_fma_f16 v39, v1, v53, v39
	v_mul_f16_sdwa v53, v1, v53 dst_sel:DWORD dst_unused:UNUSED_PAD src0_sel:WORD_1 src1_sel:DWORD
	v_fma_f16 v1, v1, v71, -v53
	v_mul_f16_sdwa v53, v2, v72 dst_sel:DWORD dst_unused:UNUSED_PAD src0_sel:WORD_1 src1_sel:DWORD
	s_waitcnt lgkmcnt(2)
	v_lshrrev_b32_e32 v37, 16, v65
	v_fma_f16 v53, v2, v54, v53
	v_mul_f16_sdwa v54, v2, v54 dst_sel:DWORD dst_unused:UNUSED_PAD src0_sel:WORD_1 src1_sel:DWORD
	v_lshrrev_b32_e32 v74, 16, v66
	v_fma_f16 v2, v2, v72, -v54
	v_mul_f16_sdwa v54, v3, v37 dst_sel:DWORD dst_unused:UNUSED_PAD src0_sel:WORD_1 src1_sel:DWORD
	v_mul_f16_sdwa v56, v3, v65 dst_sel:DWORD dst_unused:UNUSED_PAD src0_sel:WORD_1 src1_sel:DWORD
	s_waitcnt lgkmcnt(1)
	v_lshrrev_b32_e32 v75, 16, v67
	v_fma_f16 v54, v3, v65, v54
	v_fma_f16 v3, v3, v37, -v56
	v_mul_f16_sdwa v37, v4, v74 dst_sel:DWORD dst_unused:UNUSED_PAD src0_sel:WORD_1 src1_sel:DWORD
	v_mul_f16_sdwa v56, v4, v66 dst_sel:DWORD dst_unused:UNUSED_PAD src0_sel:WORD_1 src1_sel:DWORD
	v_lshrrev_b32_e32 v76, 16, v68
	v_fma_f16 v37, v4, v66, v37
	v_fma_f16 v4, v4, v74, -v56
	v_mul_f16_sdwa v56, v5, v75 dst_sel:DWORD dst_unused:UNUSED_PAD src0_sel:WORD_1 src1_sel:DWORD
	v_mul_f16_sdwa v65, v5, v67 dst_sel:DWORD dst_unused:UNUSED_PAD src0_sel:WORD_1 src1_sel:DWORD
	s_waitcnt lgkmcnt(0)
	v_lshrrev_b32_e32 v79, 16, v69
	v_fma_f16 v56, v5, v67, v56
	v_fma_f16 v5, v5, v75, -v65
	v_mul_f16_sdwa v65, v6, v76 dst_sel:DWORD dst_unused:UNUSED_PAD src0_sel:WORD_1 src1_sel:DWORD
	v_mul_f16_sdwa v66, v6, v68 dst_sel:DWORD dst_unused:UNUSED_PAD src0_sel:WORD_1 src1_sel:DWORD
	v_lshrrev_b32_e32 v80, 16, v70
	v_fma_f16 v65, v6, v68, v65
	v_fma_f16 v6, v6, v76, -v66
	v_mul_f16_sdwa v66, v7, v79 dst_sel:DWORD dst_unused:UNUSED_PAD src0_sel:WORD_1 src1_sel:DWORD
	v_mul_f16_sdwa v67, v7, v69 dst_sel:DWORD dst_unused:UNUSED_PAD src0_sel:WORD_1 src1_sel:DWORD
	v_fma_f16 v66, v7, v69, v66
	v_fma_f16 v7, v7, v79, -v67
	v_mul_f16_sdwa v67, v55, v80 dst_sel:DWORD dst_unused:UNUSED_PAD src0_sel:WORD_1 src1_sel:DWORD
	v_add_f16_e32 v69, v54, v56
	v_fma_f16 v67, v55, v70, v67
	v_mul_f16_sdwa v68, v55, v70 dst_sel:DWORD dst_unused:UNUSED_PAD src0_sel:WORD_1 src1_sel:DWORD
	v_fma_f16 v69, v69, -0.5, v38
	v_sub_f16_e32 v70, v1, v7
	s_mov_b32 s5, 0xbb9c
	v_fma_f16 v71, v70, s5, v69
	v_sub_f16_e32 v72, v3, v5
	v_sub_f16_e32 v74, v39, v54
	;; [unrolled: 1-line block ×3, first 2 shown]
	v_fma_f16 v69, v70, s2, v69
	v_fma_f16 v71, v72, s12, v71
	v_add_f16_e32 v74, v74, v75
	v_fma_f16 v69, v72, s3, v69
	v_fma_f16 v71, v74, s4, v71
	;; [unrolled: 1-line block ×3, first 2 shown]
	v_add_f16_e32 v74, v39, v66
	v_lshrrev_b32_e32 v40, 16, v38
	v_fma_f16 v55, v55, v80, -v68
	v_add_f16_e32 v68, v38, v39
	v_fma_f16 v38, v74, -0.5, v38
	v_add_f16_e32 v68, v68, v54
	v_fma_f16 v74, v72, s2, v38
	v_fma_f16 v38, v72, s5, v38
	v_add_f16_e32 v72, v3, v5
	v_add_f16_e32 v68, v68, v56
	v_sub_f16_e32 v75, v54, v39
	v_sub_f16_e32 v76, v56, v66
	v_fma_f16 v72, v72, -0.5, v40
	v_sub_f16_e32 v39, v39, v66
	v_add_f16_e32 v68, v68, v66
	v_fma_f16 v74, v70, s12, v74
	v_add_f16_e32 v75, v75, v76
	v_fma_f16 v38, v70, s3, v38
	v_fma_f16 v66, v39, s2, v72
	v_sub_f16_e32 v54, v54, v56
	v_fma_f16 v74, v75, s4, v74
	v_fma_f16 v38, v75, s4, v38
	v_fma_f16 v56, v54, s3, v66
	v_sub_f16_e32 v66, v1, v3
	v_sub_f16_e32 v75, v7, v5
	v_fma_f16 v72, v39, s5, v72
	v_add_f16_e32 v70, v40, v1
	v_add_f16_e32 v66, v66, v75
	v_fma_f16 v72, v54, s12, v72
	v_add_f16_e32 v70, v70, v3
	v_fma_f16 v56, v66, s4, v56
	v_fma_f16 v66, v66, s4, v72
	v_add_f16_e32 v72, v1, v7
	v_add_f16_e32 v70, v70, v5
	v_fma_f16 v40, v72, -0.5, v40
	v_add_f16_e32 v70, v70, v7
	v_fma_f16 v72, v54, s5, v40
	v_sub_f16_e32 v1, v3, v1
	v_sub_f16_e32 v3, v5, v7
	v_fma_f16 v5, v54, s2, v40
	v_add_f16_e32 v7, v37, v65
	v_fma_f16 v72, v39, s3, v72
	v_add_f16_e32 v1, v1, v3
	v_fma_f16 v5, v39, s12, v5
	v_fma_f16 v7, v7, -0.5, v81
	v_sub_f16_e32 v39, v2, v55
	v_fma_f16 v3, v1, s4, v72
	v_fma_f16 v40, v39, s5, v7
	v_sub_f16_e32 v54, v4, v6
	v_sub_f16_e32 v72, v53, v37
	;; [unrolled: 1-line block ×3, first 2 shown]
	v_fma_f16 v7, v39, s2, v7
	v_fma_f16 v40, v54, s12, v40
	v_add_f16_e32 v72, v72, v75
	v_fma_f16 v7, v54, s3, v7
	v_fma_f16 v40, v72, s4, v40
	;; [unrolled: 1-line block ×3, first 2 shown]
	v_add_f16_e32 v72, v53, v67
	v_fma_f16 v1, v1, s4, v5
	v_add_f16_e32 v5, v81, v53
	v_fma_f16 v72, v72, -0.5, v81
	v_add_f16_e32 v5, v5, v37
	v_fma_f16 v75, v54, s2, v72
	v_fma_f16 v54, v54, s5, v72
	v_add_f16_e32 v72, v4, v6
	v_add_f16_e32 v5, v5, v65
	v_sub_f16_e32 v76, v37, v53
	v_sub_f16_e32 v79, v65, v67
	v_fma_f16 v72, v72, -0.5, v0
	v_sub_f16_e32 v53, v53, v67
	v_add_f16_e32 v5, v5, v67
	v_fma_f16 v75, v39, s12, v75
	v_add_f16_e32 v76, v76, v79
	v_fma_f16 v39, v39, s3, v54
	v_fma_f16 v67, v53, s2, v72
	v_sub_f16_e32 v37, v37, v65
	v_fma_f16 v75, v76, s4, v75
	v_fma_f16 v39, v76, s4, v39
	;; [unrolled: 1-line block ×3, first 2 shown]
	v_sub_f16_e32 v67, v2, v4
	v_sub_f16_e32 v76, v55, v6
	v_fma_f16 v72, v53, s5, v72
	v_add_f16_e32 v67, v67, v76
	v_fma_f16 v72, v37, s12, v72
	v_fma_f16 v65, v67, s4, v65
	;; [unrolled: 1-line block ×3, first 2 shown]
	v_add_f16_e32 v72, v2, v55
	v_add_f16_e32 v54, v0, v2
	v_fma_f16 v0, v72, -0.5, v0
	v_add_f16_e32 v54, v54, v4
	v_fma_f16 v72, v37, s5, v0
	v_sub_f16_e32 v2, v4, v2
	v_sub_f16_e32 v4, v6, v55
	v_fma_f16 v72, v53, s3, v72
	v_add_f16_e32 v2, v2, v4
	v_fma_f16 v0, v37, s2, v0
	v_fma_f16 v4, v2, s4, v72
	;; [unrolled: 1-line block ×3, first 2 shown]
	v_add_f16_e32 v54, v54, v6
	v_fma_f16 v0, v2, s4, v0
	v_mul_f16_e32 v6, 0xb8b4, v65
	s_movk_i32 s5, 0x3a79
	v_mul_f16_e32 v37, 0xbb9c, v4
	v_mul_f16_e32 v65, 0x3a79, v65
	v_add_f16_e32 v54, v54, v55
	v_fma_f16 v6, v40, s5, v6
	v_fma_f16 v37, v75, s4, v37
	v_mul_f16_e32 v72, 0xbb9c, v0
	s_mov_b32 s4, 0xb4f2
	v_fma_f16 v40, v40, s3, v65
	v_mul_f16_e32 v4, 0x34f2, v4
	v_mul_f16_e32 v0, 0xb4f2, v0
	v_add_f16_e32 v2, v68, v5
	v_add_f16_e32 v53, v71, v6
	v_fma_f16 v72, v39, s4, v72
	v_mul_f16_e32 v79, 0xb8b4, v67
	s_mov_b32 s4, 0xba79
	v_add_f16_e32 v81, v70, v54
	v_add_f16_e32 v65, v56, v40
	v_fma_f16 v4, v75, s2, v4
	v_fma_f16 v0, v39, s2, v0
	v_mul_f16_e32 v67, 0xba79, v67
	v_add_f16_e32 v55, v74, v37
	v_add_f16_e32 v76, v38, v72
	v_fma_f16 v79, v7, s4, v79
	v_add_f16_e32 v75, v3, v4
	v_add_f16_e32 v39, v1, v0
	v_fma_f16 v7, v7, s3, v67
	v_sub_f16_e32 v0, v1, v0
	v_pack_b32_f16 v1, v2, v81
	v_pack_b32_f16 v2, v53, v65
	v_add_f16_e32 v80, v69, v79
	v_add_f16_e32 v67, v66, v7
	v_sub_f16_e32 v5, v68, v5
	v_sub_f16_e32 v54, v70, v54
	s_barrier
	ds_write2_b32 v57, v1, v2 offset1:5
	v_pack_b32_f16 v1, v55, v75
	v_pack_b32_f16 v2, v76, v39
	v_sub_f16_e32 v6, v71, v6
	v_sub_f16_e32 v68, v74, v37
	;; [unrolled: 1-line block ×4, first 2 shown]
	ds_write2_b32 v57, v1, v2 offset0:10 offset1:15
	v_pack_b32_f16 v1, v80, v67
	v_pack_b32_f16 v2, v5, v54
	v_sub_f16_e32 v71, v38, v72
	v_sub_f16_e32 v37, v69, v79
	;; [unrolled: 1-line block ×3, first 2 shown]
	ds_write2_b32 v57, v1, v2 offset0:20 offset1:25
	v_pack_b32_f16 v1, v6, v40
	v_pack_b32_f16 v2, v68, v3
	ds_write2_b32 v57, v1, v2 offset0:30 offset1:35
	v_pack_b32_f16 v0, v71, v0
	v_pack_b32_f16 v1, v37, v38
	ds_write2_b32 v57, v0, v1 offset0:40 offset1:45
	s_waitcnt lgkmcnt(0)
	s_barrier
	ds_read2_b32 v[2:3], v47 offset1:135
	ds_read2_b32 v[0:1], v77 offset0:14 offset1:194
	ds_read2_b32 v[6:7], v73 offset0:4 offset1:139
	;; [unrolled: 1-line block ×3, first 2 shown]
	ds_read_b32 v39, v47 offset:4680
	s_and_saveexec_b64 s[2:3], s[0:1]
	s_cbranch_execz .LBB0_15
; %bb.14:
	ds_read_b32 v37, v47 offset:1620
	ds_read_b32 v33, v47 offset:3420
	;; [unrolled: 1-line block ×3, first 2 shown]
	s_waitcnt lgkmcnt(2)
	v_lshrrev_b32_e32 v38, 16, v37
	s_waitcnt lgkmcnt(1)
	v_lshrrev_b32_e32 v36, 16, v33
	;; [unrolled: 2-line block ×3, first 2 shown]
.LBB0_15:
	s_or_b64 exec, exec, s[2:3]
	s_waitcnt lgkmcnt(3)
	v_lshrrev_b32_e32 v53, 16, v1
	v_mul_f16_sdwa v68, v9, v53 dst_sel:DWORD dst_unused:UNUSED_PAD src0_sel:WORD_1 src1_sel:DWORD
	s_waitcnt lgkmcnt(2)
	v_lshrrev_b32_e32 v54, 16, v6
	v_fma_f16 v68, v9, v1, v68
	v_mul_f16_sdwa v1, v9, v1 dst_sel:DWORD dst_unused:UNUSED_PAD src0_sel:WORD_1 src1_sel:DWORD
	v_fma_f16 v1, v9, v53, -v1
	v_mul_f16_sdwa v9, v10, v54 dst_sel:DWORD dst_unused:UNUSED_PAD src0_sel:WORD_1 src1_sel:DWORD
	s_waitcnt lgkmcnt(1)
	v_lshrrev_b32_e32 v56, 16, v4
	v_fma_f16 v9, v10, v6, v9
	v_mul_f16_sdwa v6, v10, v6 dst_sel:DWORD dst_unused:UNUSED_PAD src0_sel:WORD_1 src1_sel:DWORD
	v_fma_f16 v6, v10, v54, -v6
	v_mul_f16_sdwa v10, v11, v56 dst_sel:DWORD dst_unused:UNUSED_PAD src0_sel:WORD_1 src1_sel:DWORD
	v_lshrrev_b32_e32 v57, 16, v7
	v_fma_f16 v10, v11, v4, v10
	v_mul_f16_sdwa v4, v11, v4 dst_sel:DWORD dst_unused:UNUSED_PAD src0_sel:WORD_1 src1_sel:DWORD
	v_fma_f16 v4, v11, v56, -v4
	v_mul_f16_sdwa v11, v12, v57 dst_sel:DWORD dst_unused:UNUSED_PAD src0_sel:WORD_1 src1_sel:DWORD
	;; [unrolled: 5-line block ×3, first 2 shown]
	s_waitcnt lgkmcnt(0)
	v_lshrrev_b32_e32 v67, 16, v39
	v_fma_f16 v12, v13, v5, v12
	v_mul_f16_sdwa v5, v13, v5 dst_sel:DWORD dst_unused:UNUSED_PAD src0_sel:WORD_1 src1_sel:DWORD
	v_fma_f16 v5, v13, v66, -v5
	v_mul_f16_sdwa v13, v14, v67 dst_sel:DWORD dst_unused:UNUSED_PAD src0_sel:WORD_1 src1_sel:DWORD
	v_fma_f16 v13, v14, v39, v13
	v_mul_f16_sdwa v39, v14, v39 dst_sel:DWORD dst_unused:UNUSED_PAD src0_sel:WORD_1 src1_sel:DWORD
	v_fma_f16 v14, v14, v67, -v39
	v_mul_f16_sdwa v39, v15, v36 dst_sel:DWORD dst_unused:UNUSED_PAD src0_sel:WORD_1 src1_sel:DWORD
	;; [unrolled: 4-line block ×3, first 2 shown]
	v_fma_f16 v33, v16, v34, v33
	v_mul_f16_sdwa v34, v16, v34 dst_sel:DWORD dst_unused:UNUSED_PAD src0_sel:WORD_1 src1_sel:DWORD
	v_fma_f16 v16, v16, v35, -v34
	v_add_f16_e32 v35, v68, v9
	v_lshrrev_b32_e32 v40, 16, v2
	v_add_f16_e32 v34, v2, v68
	v_fma_f16 v2, v35, -0.5, v2
	v_sub_f16_e32 v35, v1, v6
	s_mov_b32 s2, 0xbaee
	s_movk_i32 s3, 0x3aee
	v_fma_f16 v36, v35, s2, v2
	v_fma_f16 v2, v35, s3, v2
	v_add_f16_e32 v35, v40, v1
	v_add_f16_e32 v1, v1, v6
	;; [unrolled: 1-line block ×4, first 2 shown]
	v_fma_f16 v1, v1, -0.5, v40
	v_sub_f16_e32 v6, v68, v9
	v_add_f16_e32 v9, v10, v11
	v_lshrrev_b32_e32 v55, 16, v3
	v_fma_f16 v40, v6, s3, v1
	v_fma_f16 v1, v6, s2, v1
	v_add_f16_e32 v6, v3, v10
	v_fma_f16 v3, v9, -0.5, v3
	v_sub_f16_e32 v9, v4, v7
	v_fma_f16 v53, v9, s2, v3
	v_fma_f16 v3, v9, s3, v3
	v_add_f16_e32 v9, v55, v4
	v_add_f16_e32 v4, v4, v7
	;; [unrolled: 1-line block ×3, first 2 shown]
	v_fma_f16 v4, v4, -0.5, v55
	v_sub_f16_e32 v7, v10, v11
	v_add_f16_e32 v9, v12, v13
	v_lshrrev_b32_e32 v65, 16, v0
	v_fma_f16 v55, v7, s3, v4
	v_fma_f16 v4, v7, s2, v4
	v_add_f16_e32 v7, v0, v12
	v_fma_f16 v0, v9, -0.5, v0
	v_sub_f16_e32 v9, v5, v14
	v_fma_f16 v56, v9, s2, v0
	v_fma_f16 v0, v9, s3, v0
	v_add_f16_e32 v9, v65, v5
	v_add_f16_e32 v10, v39, v33
	;; [unrolled: 1-line block ×4, first 2 shown]
	v_sub_f16_e32 v9, v12, v13
	v_fma_f16 v11, v10, -0.5, v37
	v_sub_f16_e32 v12, v15, v16
	v_fma_f16 v10, v12, s2, v11
	v_fma_f16 v11, v12, s3, v11
	v_add_f16_e32 v12, v38, v15
	v_add_f16_e32 v5, v5, v14
	;; [unrolled: 1-line block ×4, first 2 shown]
	v_fma_f16 v12, v12, -0.5, v38
	v_sub_f16_e32 v15, v39, v33
	v_pack_b32_f16 v1, v2, v1
	v_add_f16_e32 v7, v7, v13
	v_fma_f16 v5, v5, -0.5, v65
	v_fma_f16 v13, v15, s3, v12
	v_fma_f16 v12, v15, s2, v12
	s_barrier
	v_pack_b32_f16 v15, v34, v35
	v_pack_b32_f16 v16, v36, v40
	ds_write_b32 v59, v1 offset:400
	v_pack_b32_f16 v1, v6, v54
	v_pack_b32_f16 v2, v53, v55
	v_fma_f16 v65, v9, s3, v5
	v_fma_f16 v5, v9, s2, v5
	v_add_f16_e32 v9, v37, v39
	ds_write2_b32 v59, v15, v16 offset1:50
	ds_write2_b32 v60, v1, v2 offset1:50
	v_pack_b32_f16 v1, v3, v4
	v_add_f16_e32 v9, v9, v33
	ds_write_b32 v60, v1 offset:400
	v_pack_b32_f16 v1, v7, v57
	v_pack_b32_f16 v2, v56, v65
	;; [unrolled: 1-line block ×3, first 2 shown]
	ds_write2_b32 v61, v1, v2 offset1:50
	ds_write_b32 v61, v0 offset:400
	s_and_saveexec_b64 s[2:3], s[0:1]
	s_cbranch_execz .LBB0_17
; %bb.16:
	s_mov_b32 s4, 0x5040100
	v_perm_b32 v0, v14, v9, s4
	v_perm_b32 v1, v13, v10, s4
	v_add_u32_e32 v2, 0x1000, v58
	ds_write2_b32 v2, v0, v1 offset0:176 offset1:226
	v_perm_b32 v0, v12, v11, s4
	ds_write_b32 v58, v0 offset:5200
.LBB0_17:
	s_or_b64 exec, exec, s[2:3]
	v_add_u32_e32 v4, 0xe00, v47
	s_waitcnt lgkmcnt(0)
	s_barrier
	v_add_u32_e32 v0, 0x400, v47
	ds_read2_b32 v[6:7], v4 offset0:4 offset1:139
	v_add_u32_e32 v4, 0x800, v47
	ds_read2_b32 v[2:3], v47 offset1:135
	ds_read2_b32 v[0:1], v0 offset0:14 offset1:194
	ds_read2_b32 v[4:5], v4 offset0:73 offset1:208
	ds_read_b32 v15, v47 offset:4680
	s_and_saveexec_b64 s[2:3], s[0:1]
	s_cbranch_execz .LBB0_19
; %bb.18:
	ds_read_b32 v9, v47 offset:1620
	ds_read_b32 v10, v47 offset:3420
	;; [unrolled: 1-line block ×3, first 2 shown]
	s_waitcnt lgkmcnt(2)
	v_lshrrev_b32_e32 v14, 16, v9
	s_waitcnt lgkmcnt(1)
	v_lshrrev_b32_e32 v13, 16, v10
	;; [unrolled: 2-line block ×3, first 2 shown]
.LBB0_19:
	s_or_b64 exec, exec, s[2:3]
	s_waitcnt lgkmcnt(2)
	v_lshrrev_b32_e32 v33, 16, v1
	v_mul_f16_sdwa v53, v17, v33 dst_sel:DWORD dst_unused:UNUSED_PAD src0_sel:WORD_1 src1_sel:DWORD
	v_lshrrev_b32_e32 v34, 16, v6
	v_fma_f16 v53, v17, v1, v53
	v_mul_f16_sdwa v1, v17, v1 dst_sel:DWORD dst_unused:UNUSED_PAD src0_sel:WORD_1 src1_sel:DWORD
	v_fma_f16 v1, v17, v33, -v1
	v_mul_f16_sdwa v17, v18, v34 dst_sel:DWORD dst_unused:UNUSED_PAD src0_sel:WORD_1 src1_sel:DWORD
	s_waitcnt lgkmcnt(1)
	v_lshrrev_b32_e32 v36, 16, v4
	v_fma_f16 v17, v18, v6, v17
	v_mul_f16_sdwa v6, v18, v6 dst_sel:DWORD dst_unused:UNUSED_PAD src0_sel:WORD_1 src1_sel:DWORD
	v_fma_f16 v6, v18, v34, -v6
	v_mul_f16_sdwa v18, v19, v36 dst_sel:DWORD dst_unused:UNUSED_PAD src0_sel:WORD_1 src1_sel:DWORD
	v_lshrrev_b32_e32 v37, 16, v7
	v_fma_f16 v18, v19, v4, v18
	v_mul_f16_sdwa v4, v19, v4 dst_sel:DWORD dst_unused:UNUSED_PAD src0_sel:WORD_1 src1_sel:DWORD
	v_fma_f16 v4, v19, v36, -v4
	v_mul_f16_sdwa v19, v20, v37 dst_sel:DWORD dst_unused:UNUSED_PAD src0_sel:WORD_1 src1_sel:DWORD
	;; [unrolled: 5-line block ×3, first 2 shown]
	s_waitcnt lgkmcnt(0)
	v_lshrrev_b32_e32 v40, 16, v15
	v_fma_f16 v20, v21, v5, v20
	v_mul_f16_sdwa v5, v21, v5 dst_sel:DWORD dst_unused:UNUSED_PAD src0_sel:WORD_1 src1_sel:DWORD
	v_fma_f16 v5, v21, v39, -v5
	v_mul_f16_sdwa v21, v22, v40 dst_sel:DWORD dst_unused:UNUSED_PAD src0_sel:WORD_1 src1_sel:DWORD
	v_fma_f16 v21, v22, v15, v21
	v_mul_f16_sdwa v15, v22, v15 dst_sel:DWORD dst_unused:UNUSED_PAD src0_sel:WORD_1 src1_sel:DWORD
	v_fma_f16 v15, v22, v40, -v15
	v_mul_f16_sdwa v22, v23, v13 dst_sel:DWORD dst_unused:UNUSED_PAD src0_sel:WORD_1 src1_sel:DWORD
	;; [unrolled: 4-line block ×3, first 2 shown]
	v_fma_f16 v33, v24, v11, v10
	v_mul_f16_sdwa v10, v24, v11 dst_sel:DWORD dst_unused:UNUSED_PAD src0_sel:WORD_1 src1_sel:DWORD
	v_fma_f16 v24, v24, v12, -v10
	v_add_f16_e32 v10, v2, v53
	v_add_f16_e32 v34, v10, v17
	;; [unrolled: 1-line block ×3, first 2 shown]
	v_lshrrev_b32_e32 v16, 16, v2
	v_fma_f16 v2, v10, -0.5, v2
	v_sub_f16_e32 v10, v1, v6
	s_mov_b32 s2, 0xbaee
	s_movk_i32 s3, 0x3aee
	v_fma_f16 v36, v10, s2, v2
	v_fma_f16 v2, v10, s3, v2
	v_add_f16_e32 v10, v16, v1
	v_add_f16_e32 v1, v1, v6
	;; [unrolled: 1-line block ×3, first 2 shown]
	v_fma_f16 v1, v1, -0.5, v16
	v_sub_f16_e32 v6, v53, v17
	v_add_f16_e32 v10, v18, v19
	v_lshrrev_b32_e32 v35, 16, v3
	v_fma_f16 v16, v6, s3, v1
	v_fma_f16 v1, v6, s2, v1
	v_add_f16_e32 v6, v3, v18
	v_fma_f16 v3, v10, -0.5, v3
	v_sub_f16_e32 v10, v4, v7
	v_fma_f16 v17, v10, s2, v3
	v_fma_f16 v3, v10, s3, v3
	v_add_f16_e32 v10, v35, v4
	v_add_f16_e32 v4, v4, v7
	;; [unrolled: 1-line block ×3, first 2 shown]
	v_fma_f16 v4, v4, -0.5, v35
	v_sub_f16_e32 v7, v18, v19
	v_add_f16_e32 v10, v20, v21
	v_lshrrev_b32_e32 v38, 16, v0
	v_fma_f16 v18, v7, s3, v4
	v_fma_f16 v4, v7, s2, v4
	v_add_f16_e32 v7, v0, v20
	v_fma_f16 v0, v10, -0.5, v0
	v_sub_f16_e32 v10, v5, v15
	v_add_f16_e32 v6, v6, v19
	v_fma_f16 v19, v10, s2, v0
	v_fma_f16 v0, v10, s3, v0
	v_add_f16_e32 v10, v38, v5
	v_add_f16_e32 v5, v5, v15
	;; [unrolled: 1-line block ×3, first 2 shown]
	v_fma_f16 v5, v5, -0.5, v38
	v_sub_f16_e32 v10, v20, v21
	v_add_f16_e32 v11, v22, v33
	v_fma_f16 v20, v10, s3, v5
	v_fma_f16 v5, v10, s2, v5
	v_add_f16_e32 v10, v9, v22
	v_fma_f16 v9, v11, -0.5, v9
	v_sub_f16_e32 v12, v23, v24
	v_fma_f16 v11, v12, s2, v9
	v_fma_f16 v13, v12, s3, v9
	v_add_f16_e32 v9, v14, v23
	v_add_f16_e32 v12, v9, v24
	;; [unrolled: 1-line block ×3, first 2 shown]
	v_fma_f16 v9, v9, -0.5, v14
	v_sub_f16_e32 v15, v22, v33
	v_pack_b32_f16 v1, v2, v1
	v_fma_f16 v14, v15, s3, v9
	v_fma_f16 v15, v15, s2, v9
	s_barrier
	v_pack_b32_f16 v9, v34, v37
	v_pack_b32_f16 v16, v36, v16
	ds_write_b32 v47, v1 offset:1200
	v_pack_b32_f16 v1, v6, v39
	v_pack_b32_f16 v2, v17, v18
	v_add_f16_e32 v7, v7, v21
	ds_write2_b32 v47, v9, v16 offset1:150
	ds_write2_b32 v63, v1, v2 offset1:150
	v_pack_b32_f16 v1, v3, v4
	v_add_f16_e32 v10, v10, v33
	ds_write_b32 v63, v1 offset:1200
	v_pack_b32_f16 v1, v7, v35
	v_pack_b32_f16 v2, v19, v20
	;; [unrolled: 1-line block ×3, first 2 shown]
	ds_write2_b32 v64, v1, v2 offset1:150
	ds_write_b32 v64, v0 offset:1200
	s_and_saveexec_b64 s[2:3], s[0:1]
	s_cbranch_execz .LBB0_21
; %bb.20:
	s_mov_b32 s4, 0x5040100
	v_perm_b32 v0, v12, v10, s4
	v_perm_b32 v1, v14, v11, s4
	v_add_u32_e32 v2, 0xe00, v62
	ds_write2_b32 v2, v0, v1 offset0:4 offset1:154
	v_perm_b32 v0, v15, v13, s4
	ds_write_b32 v62, v0 offset:4800
.LBB0_21:
	s_or_b64 exec, exec, s[2:3]
	v_add_u32_e32 v0, 0x400, v47
	v_add_u32_e32 v4, 0xe00, v47
	;; [unrolled: 1-line block ×3, first 2 shown]
	s_waitcnt lgkmcnt(0)
	s_barrier
	ds_read2_b32 v[2:3], v47 offset1:135
	ds_read2_b32 v[0:1], v0 offset0:14 offset1:194
	ds_read2_b32 v[6:7], v4 offset0:4 offset1:139
	;; [unrolled: 1-line block ×3, first 2 shown]
	ds_read_b32 v16, v47 offset:4680
	s_and_saveexec_b64 s[2:3], s[0:1]
	s_cbranch_execz .LBB0_23
; %bb.22:
	ds_read_b32 v10, v47 offset:1620
	ds_read_b32 v11, v47 offset:3420
	;; [unrolled: 1-line block ×3, first 2 shown]
	s_waitcnt lgkmcnt(2)
	v_lshrrev_b32_e32 v12, 16, v10
	s_waitcnt lgkmcnt(1)
	v_lshrrev_b32_e32 v14, 16, v11
	;; [unrolled: 2-line block ×3, first 2 shown]
.LBB0_23:
	s_or_b64 exec, exec, s[2:3]
	s_waitcnt lgkmcnt(3)
	v_lshrrev_b32_e32 v18, 16, v1
	v_mul_f16_sdwa v34, v27, v18 dst_sel:DWORD dst_unused:UNUSED_PAD src0_sel:WORD_1 src1_sel:DWORD
	s_waitcnt lgkmcnt(2)
	v_lshrrev_b32_e32 v19, 16, v6
	v_fma_f16 v34, v27, v1, v34
	v_mul_f16_sdwa v1, v27, v1 dst_sel:DWORD dst_unused:UNUSED_PAD src0_sel:WORD_1 src1_sel:DWORD
	v_fma_f16 v1, v27, v18, -v1
	v_mul_f16_sdwa v18, v28, v19 dst_sel:DWORD dst_unused:UNUSED_PAD src0_sel:WORD_1 src1_sel:DWORD
	s_waitcnt lgkmcnt(1)
	v_lshrrev_b32_e32 v21, 16, v4
	v_fma_f16 v18, v28, v6, v18
	v_mul_f16_sdwa v6, v28, v6 dst_sel:DWORD dst_unused:UNUSED_PAD src0_sel:WORD_1 src1_sel:DWORD
	v_fma_f16 v6, v28, v19, -v6
	v_mul_f16_sdwa v19, v29, v21 dst_sel:DWORD dst_unused:UNUSED_PAD src0_sel:WORD_1 src1_sel:DWORD
	v_lshrrev_b32_e32 v22, 16, v7
	v_fma_f16 v19, v29, v4, v19
	v_mul_f16_sdwa v4, v29, v4 dst_sel:DWORD dst_unused:UNUSED_PAD src0_sel:WORD_1 src1_sel:DWORD
	v_fma_f16 v4, v29, v21, -v4
	v_mul_f16_sdwa v21, v30, v22 dst_sel:DWORD dst_unused:UNUSED_PAD src0_sel:WORD_1 src1_sel:DWORD
	v_add_f16_e32 v28, v34, v18
	v_lshrrev_b32_e32 v17, 16, v2
	v_lshrrev_b32_e32 v24, 16, v5
	v_fma_f16 v21, v30, v7, v21
	v_mul_f16_sdwa v7, v30, v7 dst_sel:DWORD dst_unused:UNUSED_PAD src0_sel:WORD_1 src1_sel:DWORD
	v_add_f16_e32 v27, v2, v34
	v_fma_f16 v2, v28, -0.5, v2
	v_sub_f16_e32 v28, v1, v6
	s_mov_b32 s4, 0xbaee
	s_movk_i32 s5, 0x3aee
	v_fma_f16 v7, v30, v22, -v7
	v_mul_f16_sdwa v22, v31, v24 dst_sel:DWORD dst_unused:UNUSED_PAD src0_sel:WORD_1 src1_sel:DWORD
	v_fma_f16 v29, v28, s4, v2
	v_fma_f16 v2, v28, s5, v2
	v_add_f16_e32 v28, v17, v1
	v_add_f16_e32 v1, v1, v6
	s_waitcnt lgkmcnt(0)
	v_lshrrev_b32_e32 v33, 16, v16
	v_fma_f16 v22, v31, v5, v22
	v_mul_f16_sdwa v5, v31, v5 dst_sel:DWORD dst_unused:UNUSED_PAD src0_sel:WORD_1 src1_sel:DWORD
	v_add_f16_e32 v27, v27, v18
	v_add_f16_e32 v28, v28, v6
	v_fma_f16 v1, v1, -0.5, v17
	v_sub_f16_e32 v6, v34, v18
	v_add_f16_e32 v18, v19, v21
	v_lshrrev_b32_e32 v20, 16, v3
	v_fma_f16 v5, v31, v24, -v5
	v_mul_f16_sdwa v24, v32, v33 dst_sel:DWORD dst_unused:UNUSED_PAD src0_sel:WORD_1 src1_sel:DWORD
	v_fma_f16 v17, v6, s5, v1
	v_fma_f16 v1, v6, s4, v1
	v_add_f16_e32 v6, v3, v19
	v_fma_f16 v3, v18, -0.5, v3
	v_sub_f16_e32 v18, v4, v7
	v_fma_f16 v24, v32, v16, v24
	v_mul_f16_sdwa v16, v32, v16 dst_sel:DWORD dst_unused:UNUSED_PAD src0_sel:WORD_1 src1_sel:DWORD
	v_fma_f16 v30, v18, s4, v3
	v_fma_f16 v3, v18, s5, v3
	v_add_f16_e32 v18, v20, v4
	v_add_f16_e32 v4, v4, v7
	v_fma_f16 v16, v32, v33, -v16
	v_add_f16_e32 v18, v18, v7
	v_fma_f16 v4, v4, -0.5, v20
	v_sub_f16_e32 v7, v19, v21
	v_add_f16_e32 v20, v22, v24
	v_lshrrev_b32_e32 v23, 16, v0
	v_fma_f16 v19, v7, s5, v4
	v_fma_f16 v4, v7, s4, v4
	v_add_f16_e32 v7, v0, v22
	v_fma_f16 v0, v20, -0.5, v0
	v_sub_f16_e32 v20, v5, v16
	v_add_f16_e32 v6, v6, v21
	v_fma_f16 v21, v20, s4, v0
	v_fma_f16 v0, v20, s5, v0
	v_add_f16_e32 v20, v23, v5
	v_add_f16_e32 v5, v5, v16
	;; [unrolled: 1-line block ×4, first 2 shown]
	v_fma_f16 v5, v5, -0.5, v23
	v_sub_f16_e32 v16, v22, v24
	v_pack_b32_f16 v1, v2, v1
	v_fma_f16 v22, v16, s5, v5
	v_fma_f16 v5, v16, s4, v5
	v_pack_b32_f16 v16, v27, v28
	v_pack_b32_f16 v17, v29, v17
	ds_write_b32 v47, v1 offset:3600
	v_pack_b32_f16 v1, v6, v18
	v_pack_b32_f16 v2, v3, v4
	;; [unrolled: 1-line block ×3, first 2 shown]
	ds_write_b32 v47, v17 offset:1800
	ds_write2_b32 v47, v16, v1 offset1:135
	v_pack_b32_f16 v1, v30, v19
	ds_write_b32 v47, v3 offset:1080
	v_pack_b32_f16 v3, v21, v22
	ds_write2_b32 v9, v1, v3 offset0:73 offset1:208
	v_pack_b32_f16 v0, v0, v5
	v_add_u32_e32 v9, 0x1000, v47
	ds_write2_b32 v9, v2, v0 offset0:11 offset1:146
	s_and_saveexec_b64 s[2:3], s[0:1]
	s_cbranch_execz .LBB0_25
; %bb.24:
	v_mul_f16_sdwa v0, v25, v11 dst_sel:DWORD dst_unused:UNUSED_PAD src0_sel:WORD_1 src1_sel:DWORD
	v_mul_f16_sdwa v1, v26, v13 dst_sel:DWORD dst_unused:UNUSED_PAD src0_sel:WORD_1 src1_sel:DWORD
	v_fma_f16 v0, v25, v14, -v0
	v_fma_f16 v1, v26, v15, -v1
	v_mul_f16_sdwa v3, v25, v14 dst_sel:DWORD dst_unused:UNUSED_PAD src0_sel:WORD_1 src1_sel:DWORD
	v_mul_f16_sdwa v4, v26, v15 dst_sel:DWORD dst_unused:UNUSED_PAD src0_sel:WORD_1 src1_sel:DWORD
	v_add_f16_e32 v2, v0, v1
	v_fma_f16 v3, v25, v11, v3
	v_fma_f16 v4, v26, v13, v4
	v_fma_f16 v2, v2, -0.5, v12
	v_sub_f16_e32 v5, v3, v4
	v_add_f16_e32 v7, v3, v4
	v_fma_f16 v6, v5, s4, v2
	v_fma_f16 v2, v5, s5, v2
	v_add_f16_e32 v5, v12, v0
	v_fma_f16 v7, v7, -0.5, v10
	v_sub_f16_e32 v0, v0, v1
	v_add_f16_e32 v5, v5, v1
	v_fma_f16 v1, v0, s5, v7
	v_fma_f16 v0, v0, s4, v7
	v_add_f16_e32 v3, v10, v3
	v_add_f16_e32 v3, v3, v4
	v_pack_b32_f16 v0, v0, v2
	v_pack_b32_f16 v3, v3, v5
	ds_write_b32 v47, v0 offset:3420
	v_pack_b32_f16 v0, v1, v6
	ds_write_b32 v47, v3 offset:1620
	ds_write_b32 v47, v0 offset:5220
.LBB0_25:
	s_or_b64 exec, exec, s[2:3]
	s_waitcnt lgkmcnt(0)
	s_barrier
	ds_read2_b32 v[0:1], v47 offset1:135
	s_mov_b32 s2, 0xa0ce5129
	s_mov_b32 s3, 0x3f4845c8
	v_mad_u64_u32 v[4:5], s[0:1], s10, v8, 0
	s_waitcnt lgkmcnt(0)
	v_lshrrev_b32_e32 v7, 16, v0
	v_mul_f16_sdwa v2, v52, v7 dst_sel:DWORD dst_unused:UNUSED_PAD src0_sel:WORD_1 src1_sel:DWORD
	v_fma_f16 v2, v52, v0, v2
	v_cvt_f32_f16_e32 v2, v2
	s_movk_i32 s4, 0x1ff
	v_mad_u64_u32 v[5:6], s[0:1], s11, v8, v[5:6]
	v_cvt_f64_f32_e32 v[2:3], v2
	s_movk_i32 s5, 0xffe
	v_mul_f16_sdwa v0, v52, v0 dst_sel:DWORD dst_unused:UNUSED_PAD src0_sel:WORD_1 src1_sel:DWORD
	v_fma_f16 v0, v52, v7, -v0
	v_mul_f64 v[2:3], v[2:3], s[2:3]
	v_cvt_f32_f16_e32 v7, v0
	v_mov_b32_e32 v0, 0x7c00
	s_movk_i32 s10, 0x40f
	s_mov_b32 s11, 0x8000
	v_lshlrev_b64 v[4:5], 2, v[4:5]
	v_and_or_b32 v2, v3, s4, v2
	v_cmp_ne_u32_e32 vcc, 0, v2
	v_lshrrev_b32_e32 v6, 8, v3
	v_bfe_u32 v8, v3, 20, 11
	v_cndmask_b32_e64 v2, 0, 1, vcc
	v_sub_u32_e32 v10, 0x3f1, v8
	v_and_or_b32 v2, v6, s5, v2
	v_or_b32_e32 v6, 0x1000, v2
	v_med3_i32 v10, v10, 0, 13
	v_lshrrev_b32_e32 v11, v10, v6
	v_lshlrev_b32_e32 v10, v10, v11
	v_cmp_ne_u32_e32 vcc, v10, v6
	v_cndmask_b32_e64 v6, 0, 1, vcc
	v_add_u32_e32 v8, 0xfffffc10, v8
	v_or_b32_e32 v6, v11, v6
	v_lshl_or_b32 v10, v8, 12, v2
	v_cmp_gt_i32_e32 vcc, 1, v8
	v_cndmask_b32_e32 v6, v10, v6, vcc
	v_and_b32_e32 v10, 7, v6
	v_cmp_lt_i32_e32 vcc, 5, v10
	v_cmp_eq_u32_e64 s[0:1], 3, v10
	v_lshrrev_b32_e32 v6, 2, v6
	s_or_b64 vcc, s[0:1], vcc
	v_addc_co_u32_e32 v10, vcc, 0, v6, vcc
	v_cvt_f64_f32_e32 v[6:7], v7
	v_cmp_gt_i32_e32 vcc, 31, v8
	v_cndmask_b32_e32 v10, v0, v10, vcc
	v_cmp_ne_u32_e32 vcc, 0, v2
	v_mul_f64 v[6:7], v[6:7], s[2:3]
	v_cndmask_b32_e64 v2, 0, 1, vcc
	v_lshl_or_b32 v2, v2, 9, v0
	v_cmp_eq_u32_e32 vcc, s10, v8
	v_cndmask_b32_e32 v2, v10, v2, vcc
	v_lshrrev_b32_e32 v3, 16, v3
	v_and_or_b32 v8, v3, s11, v2
	v_and_b32_e32 v8, 0xffff, v8
	v_and_or_b32 v2, v7, s4, v6
	v_cmp_ne_u32_e32 vcc, 0, v2
	v_cndmask_b32_e64 v2, 0, 1, vcc
	v_lshrrev_b32_e32 v3, 8, v7
	v_bfe_u32 v6, v7, 20, 11
	v_and_or_b32 v2, v3, s5, v2
	v_sub_u32_e32 v10, 0x3f1, v6
	v_or_b32_e32 v3, 0x1000, v2
	v_med3_i32 v10, v10, 0, 13
	v_lshrrev_b32_e32 v11, v10, v3
	v_lshlrev_b32_e32 v10, v10, v11
	v_cmp_ne_u32_e32 vcc, v10, v3
	v_cndmask_b32_e64 v3, 0, 1, vcc
	v_add_u32_e32 v6, 0xfffffc10, v6
	v_or_b32_e32 v3, v11, v3
	v_lshl_or_b32 v10, v6, 12, v2
	v_cmp_gt_i32_e32 vcc, 1, v6
	v_cndmask_b32_e32 v3, v10, v3, vcc
	v_and_b32_e32 v10, 7, v3
	v_cmp_lt_i32_e32 vcc, 5, v10
	v_cmp_eq_u32_e64 s[0:1], 3, v10
	v_lshrrev_b32_e32 v3, 2, v3
	s_or_b64 vcc, s[0:1], vcc
	v_addc_co_u32_e32 v3, vcc, 0, v3, vcc
	v_cmp_gt_i32_e32 vcc, 31, v6
	v_cndmask_b32_e32 v3, v0, v3, vcc
	v_cmp_ne_u32_e32 vcc, 0, v2
	v_cndmask_b32_e64 v2, 0, 1, vcc
	v_lshl_or_b32 v2, v2, 9, v0
	v_cmp_eq_u32_e32 vcc, s10, v6
	v_cndmask_b32_e32 v12, v3, v2, vcc
	v_add_u32_e32 v2, 0x400, v47
	v_mad_u64_u32 v[10:11], s[0:1], s8, v50, 0
	ds_read2_b32 v[2:3], v2 offset0:14 offset1:149
	v_lshrrev_b32_e32 v13, 16, v7
	v_mov_b32_e32 v6, v11
	v_mad_u64_u32 v[6:7], s[0:1], s9, v50, v[6:7]
	s_waitcnt lgkmcnt(0)
	v_lshrrev_b32_e32 v14, 16, v2
	v_mul_f16_sdwa v7, v51, v14 dst_sel:DWORD dst_unused:UNUSED_PAD src0_sel:WORD_1 src1_sel:DWORD
	v_fma_f16 v7, v51, v2, v7
	v_cvt_f32_f16_e32 v7, v7
	v_mov_b32_e32 v11, v6
	v_and_or_b32 v12, v13, s11, v12
	v_lshl_or_b32 v8, v12, 16, v8
	v_cvt_f64_f32_e32 v[6:7], v7
	v_mov_b32_e32 v12, s7
	v_add_co_u32_e32 v13, vcc, s6, v4
	v_mul_f64 v[6:7], v[6:7], s[2:3]
	v_addc_co_u32_e32 v12, vcc, v12, v5, vcc
	v_lshlrev_b64 v[4:5], 2, v[10:11]
	v_mul_f16_sdwa v2, v51, v2 dst_sel:DWORD dst_unused:UNUSED_PAD src0_sel:WORD_1 src1_sel:DWORD
	v_add_co_u32_e32 v10, vcc, v13, v4
	v_addc_co_u32_e32 v11, vcc, v12, v5, vcc
	v_and_or_b32 v4, v7, s4, v6
	v_cmp_ne_u32_e32 vcc, 0, v4
	v_cndmask_b32_e64 v4, 0, 1, vcc
	v_lshrrev_b32_e32 v5, 8, v7
	global_store_dword v[10:11], v8, off
	v_and_or_b32 v8, v5, s5, v4
	v_bfe_u32 v5, v7, 20, 11
	v_sub_u32_e32 v6, 0x3f1, v5
	v_or_b32_e32 v4, 0x1000, v8
	v_med3_i32 v6, v6, 0, 13
	v_lshrrev_b32_e32 v12, v6, v4
	v_lshlrev_b32_e32 v6, v6, v12
	v_cmp_ne_u32_e32 vcc, v6, v4
	v_cndmask_b32_e64 v4, 0, 1, vcc
	v_fma_f16 v2, v51, v14, -v2
	v_or_b32_e32 v4, v12, v4
	v_add_u32_e32 v12, 0xfffffc10, v5
	v_cvt_f32_f16_e32 v2, v2
	v_lshl_or_b32 v5, v12, 12, v8
	v_cmp_gt_i32_e32 vcc, 1, v12
	v_cndmask_b32_e32 v4, v5, v4, vcc
	v_and_b32_e32 v5, 7, v4
	v_cmp_lt_i32_e32 vcc, 5, v5
	v_cmp_eq_u32_e64 s[0:1], 3, v5
	v_lshrrev_b32_e32 v6, 2, v4
	v_cvt_f64_f32_e32 v[4:5], v2
	s_or_b64 vcc, s[0:1], vcc
	v_addc_co_u32_e32 v2, vcc, 0, v6, vcc
	v_mul_f64 v[5:6], v[4:5], s[2:3]
	v_cmp_gt_i32_e32 vcc, 31, v12
	v_cndmask_b32_e32 v2, v0, v2, vcc
	v_cmp_ne_u32_e32 vcc, 0, v8
	v_cndmask_b32_e64 v4, 0, 1, vcc
	v_lshl_or_b32 v4, v4, 9, v0
	v_cmp_eq_u32_e32 vcc, s10, v12
	v_cndmask_b32_e32 v2, v2, v4, vcc
	v_lshrrev_b32_e32 v4, 16, v7
	v_and_or_b32 v2, v4, s11, v2
	v_and_or_b32 v4, v6, s4, v5
	v_cmp_ne_u32_e32 vcc, 0, v4
	v_cndmask_b32_e64 v4, 0, 1, vcc
	v_lshrrev_b32_e32 v5, 8, v6
	v_bfe_u32 v7, v6, 20, 11
	v_and_or_b32 v4, v5, s5, v4
	v_sub_u32_e32 v8, 0x3f1, v7
	v_or_b32_e32 v5, 0x1000, v4
	v_med3_i32 v8, v8, 0, 13
	v_lshrrev_b32_e32 v12, v8, v5
	v_lshlrev_b32_e32 v8, v8, v12
	v_cmp_ne_u32_e32 vcc, v8, v5
	v_cndmask_b32_e64 v5, 0, 1, vcc
	v_add_u32_e32 v7, 0xfffffc10, v7
	v_or_b32_e32 v5, v12, v5
	v_lshl_or_b32 v8, v7, 12, v4
	v_cmp_gt_i32_e32 vcc, 1, v7
	v_cndmask_b32_e32 v5, v8, v5, vcc
	v_and_b32_e32 v8, 7, v5
	v_cmp_lt_i32_e32 vcc, 5, v8
	v_cmp_eq_u32_e64 s[0:1], 3, v8
	v_lshrrev_b32_e32 v5, 2, v5
	s_or_b64 vcc, s[0:1], vcc
	v_addc_co_u32_e32 v5, vcc, 0, v5, vcc
	v_cmp_gt_i32_e32 vcc, 31, v7
	v_cndmask_b32_e32 v8, v0, v5, vcc
	v_cmp_ne_u32_e32 vcc, 0, v4
	v_add_u32_e32 v4, 0x800, v47
	ds_read2_b32 v[4:5], v4 offset0:28 offset1:163
	v_cndmask_b32_e64 v12, 0, 1, vcc
	v_lshl_or_b32 v12, v12, 9, v0
	v_cmp_eq_u32_e32 vcc, s10, v7
	v_cndmask_b32_e32 v7, v8, v12, vcc
	s_waitcnt lgkmcnt(0)
	v_lshrrev_b32_e32 v8, 16, v4
	v_mul_f16_sdwa v12, v49, v8 dst_sel:DWORD dst_unused:UNUSED_PAD src0_sel:WORD_1 src1_sel:DWORD
	v_fma_f16 v12, v49, v4, v12
	v_cvt_f32_f16_e32 v12, v12
	v_lshrrev_b32_e32 v6, 16, v6
	v_and_or_b32 v6, v6, s11, v7
	v_and_b32_e32 v2, 0xffff, v2
	v_lshl_or_b32 v2, v6, 16, v2
	v_cvt_f64_f32_e32 v[6:7], v12
	s_mul_i32 s0, s9, 0x438
	s_mul_hi_u32 s6, s8, 0x438
	s_add_i32 s6, s6, s0
	v_mul_f64 v[6:7], v[6:7], s[2:3]
	s_mul_i32 s7, s8, 0x438
	v_mov_b32_e32 v12, s6
	v_add_co_u32_e32 v10, vcc, s7, v10
	v_addc_co_u32_e32 v11, vcc, v11, v12, vcc
	global_store_dword v[10:11], v2, off
	v_and_or_b32 v2, v7, s4, v6
	v_cmp_ne_u32_e32 vcc, 0, v2
	v_cndmask_b32_e64 v2, 0, 1, vcc
	v_lshrrev_b32_e32 v6, 8, v7
	v_bfe_u32 v12, v7, 20, 11
	v_and_or_b32 v2, v6, s5, v2
	v_sub_u32_e32 v13, 0x3f1, v12
	v_or_b32_e32 v6, 0x1000, v2
	v_med3_i32 v13, v13, 0, 13
	v_lshrrev_b32_e32 v14, v13, v6
	v_lshlrev_b32_e32 v13, v13, v14
	v_cmp_ne_u32_e32 vcc, v13, v6
	v_mul_f16_sdwa v4, v49, v4 dst_sel:DWORD dst_unused:UNUSED_PAD src0_sel:WORD_1 src1_sel:DWORD
	v_cndmask_b32_e64 v6, 0, 1, vcc
	v_fma_f16 v4, v49, v8, -v4
	v_or_b32_e32 v6, v14, v6
	v_add_u32_e32 v14, 0xfffffc10, v12
	v_cvt_f32_f16_e32 v4, v4
	v_lshl_or_b32 v12, v14, 12, v2
	v_cmp_gt_i32_e32 vcc, 1, v14
	v_cndmask_b32_e32 v6, v12, v6, vcc
	v_and_b32_e32 v12, 7, v6
	v_cmp_lt_i32_e32 vcc, 5, v12
	v_cmp_eq_u32_e64 s[0:1], 3, v12
	v_cvt_f64_f32_e32 v[12:13], v4
	v_lshrrev_b32_e32 v6, 2, v6
	s_or_b64 vcc, s[0:1], vcc
	v_addc_co_u32_e32 v4, vcc, 0, v6, vcc
	v_mul_f64 v[12:13], v[12:13], s[2:3]
	v_cmp_gt_i32_e32 vcc, 31, v14
	v_cndmask_b32_e32 v4, v0, v4, vcc
	v_cmp_ne_u32_e32 vcc, 0, v2
	v_cndmask_b32_e64 v2, 0, 1, vcc
	v_lshl_or_b32 v2, v2, 9, v0
	v_cmp_eq_u32_e32 vcc, s10, v14
	v_cndmask_b32_e32 v2, v4, v2, vcc
	v_lshrrev_b32_e32 v4, 16, v7
	v_and_or_b32 v2, v4, s11, v2
	v_and_or_b32 v4, v13, s4, v12
	v_cmp_ne_u32_e32 vcc, 0, v4
	v_cndmask_b32_e64 v4, 0, 1, vcc
	v_lshrrev_b32_e32 v6, 8, v13
	v_bfe_u32 v7, v13, 20, 11
	v_and_or_b32 v4, v6, s5, v4
	v_sub_u32_e32 v8, 0x3f1, v7
	v_or_b32_e32 v6, 0x1000, v4
	v_med3_i32 v8, v8, 0, 13
	v_lshrrev_b32_e32 v12, v8, v6
	v_lshlrev_b32_e32 v8, v8, v12
	v_cmp_ne_u32_e32 vcc, v8, v6
	v_cndmask_b32_e64 v6, 0, 1, vcc
	v_add_u32_e32 v8, 0xfffffc10, v7
	v_or_b32_e32 v6, v12, v6
	v_lshl_or_b32 v7, v8, 12, v4
	v_cmp_gt_i32_e32 vcc, 1, v8
	v_cndmask_b32_e32 v6, v7, v6, vcc
	v_and_b32_e32 v7, 7, v6
	v_cmp_lt_i32_e32 vcc, 5, v7
	v_cmp_eq_u32_e64 s[0:1], 3, v7
	v_lshrrev_b32_e32 v6, 2, v6
	s_or_b64 vcc, s[0:1], vcc
	v_addc_co_u32_e32 v12, vcc, 0, v6, vcc
	v_add_u32_e32 v6, 0xc00, v47
	ds_read2_b32 v[6:7], v6 offset0:42 offset1:177
	v_cmp_gt_i32_e32 vcc, 31, v8
	v_cndmask_b32_e32 v12, v0, v12, vcc
	v_cmp_ne_u32_e32 vcc, 0, v4
	v_cndmask_b32_e64 v4, 0, 1, vcc
	s_waitcnt lgkmcnt(0)
	v_lshrrev_b32_e32 v16, 16, v6
	v_mul_f16_sdwa v14, v48, v16 dst_sel:DWORD dst_unused:UNUSED_PAD src0_sel:WORD_1 src1_sel:DWORD
	v_fma_f16 v14, v48, v6, v14
	v_cvt_f32_f16_e32 v14, v14
	v_lshl_or_b32 v4, v4, 9, v0
	v_cmp_eq_u32_e32 vcc, s10, v8
	v_cndmask_b32_e32 v4, v12, v4, vcc
	v_cvt_f64_f32_e32 v[14:15], v14
	v_lshrrev_b32_e32 v8, 16, v13
	v_and_or_b32 v4, v8, s11, v4
	v_and_b32_e32 v2, 0xffff, v2
	v_mul_f64 v[12:13], v[14:15], s[2:3]
	v_lshl_or_b32 v2, v4, 16, v2
	v_mov_b32_e32 v4, s6
	v_add_co_u32_e32 v10, vcc, s7, v10
	v_addc_co_u32_e32 v11, vcc, v11, v4, vcc
	global_store_dword v[10:11], v2, off
	v_and_or_b32 v2, v13, s4, v12
	v_cmp_ne_u32_e32 vcc, 0, v2
	v_cndmask_b32_e64 v2, 0, 1, vcc
	v_lshrrev_b32_e32 v4, 8, v13
	v_bfe_u32 v8, v13, 20, 11
	v_and_or_b32 v2, v4, s5, v2
	v_sub_u32_e32 v12, 0x3f1, v8
	v_mul_f16_sdwa v6, v48, v6 dst_sel:DWORD dst_unused:UNUSED_PAD src0_sel:WORD_1 src1_sel:DWORD
	v_or_b32_e32 v4, 0x1000, v2
	v_med3_i32 v12, v12, 0, 13
	v_fma_f16 v6, v48, v16, -v6
	v_lshrrev_b32_e32 v14, v12, v4
	v_cvt_f32_f16_e32 v6, v6
	v_lshlrev_b32_e32 v12, v12, v14
	v_cmp_ne_u32_e32 vcc, v12, v4
	v_cndmask_b32_e64 v4, 0, 1, vcc
	v_or_b32_e32 v4, v14, v4
	v_add_u32_e32 v8, 0xfffffc10, v8
	v_cvt_f64_f32_e32 v[14:15], v6
	v_lshl_or_b32 v12, v8, 12, v2
	v_cmp_gt_i32_e32 vcc, 1, v8
	v_cndmask_b32_e32 v4, v12, v4, vcc
	v_and_b32_e32 v12, 7, v4
	v_cmp_lt_i32_e32 vcc, 5, v12
	v_cmp_eq_u32_e64 s[0:1], 3, v12
	v_mul_f64 v[14:15], v[14:15], s[2:3]
	v_lshrrev_b32_e32 v4, 2, v4
	s_or_b64 vcc, s[0:1], vcc
	v_addc_co_u32_e32 v4, vcc, 0, v4, vcc
	v_cmp_gt_i32_e32 vcc, 31, v8
	v_cndmask_b32_e32 v4, v0, v4, vcc
	v_cmp_ne_u32_e32 vcc, 0, v2
	v_cndmask_b32_e64 v2, 0, 1, vcc
	v_lshl_or_b32 v2, v2, 9, v0
	v_cmp_eq_u32_e32 vcc, s10, v8
	v_cndmask_b32_e32 v2, v4, v2, vcc
	v_lshrrev_b32_e32 v4, 16, v13
	v_and_or_b32 v2, v4, s11, v2
	v_and_or_b32 v4, v15, s4, v14
	v_cmp_ne_u32_e32 vcc, 0, v4
	v_cndmask_b32_e64 v4, 0, 1, vcc
	v_lshrrev_b32_e32 v6, 8, v15
	v_bfe_u32 v8, v15, 20, 11
	v_and_or_b32 v4, v6, s5, v4
	v_sub_u32_e32 v12, 0x3f1, v8
	v_or_b32_e32 v6, 0x1000, v4
	v_med3_i32 v12, v12, 0, 13
	v_lshrrev_b32_e32 v13, v12, v6
	v_lshlrev_b32_e32 v12, v12, v13
	v_cmp_ne_u32_e32 vcc, v12, v6
	v_cndmask_b32_e64 v6, 0, 1, vcc
	v_add_u32_e32 v12, 0xfffffc10, v8
	v_or_b32_e32 v6, v13, v6
	v_lshl_or_b32 v8, v12, 12, v4
	v_cmp_gt_i32_e32 vcc, 1, v12
	v_cndmask_b32_e32 v6, v8, v6, vcc
	v_and_b32_e32 v8, 7, v6
	v_cmp_lt_i32_e32 vcc, 5, v8
	v_cmp_eq_u32_e64 s[0:1], 3, v8
	ds_read2_b32 v[8:9], v9 offset0:56 offset1:191
	v_lshrrev_b32_e32 v6, 2, v6
	s_or_b64 vcc, s[0:1], vcc
	v_addc_co_u32_e32 v6, vcc, 0, v6, vcc
	s_waitcnt lgkmcnt(0)
	v_lshrrev_b32_e32 v14, 16, v8
	v_mul_f16_sdwa v13, v45, v14 dst_sel:DWORD dst_unused:UNUSED_PAD src0_sel:WORD_1 src1_sel:DWORD
	v_fma_f16 v13, v45, v8, v13
	v_cvt_f32_f16_e32 v13, v13
	v_cmp_gt_i32_e32 vcc, 31, v12
	v_cndmask_b32_e32 v6, v0, v6, vcc
	v_cmp_ne_u32_e32 vcc, 0, v4
	v_cndmask_b32_e64 v4, 0, 1, vcc
	v_cmp_eq_u32_e32 vcc, s10, v12
	v_cvt_f64_f32_e32 v[12:13], v13
	v_lshl_or_b32 v4, v4, 9, v0
	v_cndmask_b32_e32 v4, v6, v4, vcc
	v_lshrrev_b32_e32 v6, 16, v15
	v_mul_f64 v[12:13], v[12:13], s[2:3]
	v_and_or_b32 v4, v6, s11, v4
	v_and_b32_e32 v2, 0xffff, v2
	v_lshl_or_b32 v2, v4, 16, v2
	v_mov_b32_e32 v4, s6
	v_add_co_u32_e32 v10, vcc, s7, v10
	v_addc_co_u32_e32 v11, vcc, v11, v4, vcc
	global_store_dword v[10:11], v2, off
	v_and_or_b32 v2, v13, s4, v12
	v_cmp_ne_u32_e32 vcc, 0, v2
	v_cndmask_b32_e64 v2, 0, 1, vcc
	v_lshrrev_b32_e32 v4, 8, v13
	v_bfe_u32 v6, v13, 20, 11
	v_and_or_b32 v2, v4, s5, v2
	v_sub_u32_e32 v12, 0x3f1, v6
	v_mul_f16_sdwa v8, v45, v8 dst_sel:DWORD dst_unused:UNUSED_PAD src0_sel:WORD_1 src1_sel:DWORD
	v_or_b32_e32 v4, 0x1000, v2
	v_med3_i32 v12, v12, 0, 13
	v_fma_f16 v8, v45, v14, -v8
	v_lshrrev_b32_e32 v15, v12, v4
	v_cvt_f32_f16_e32 v8, v8
	v_lshlrev_b32_e32 v12, v12, v15
	v_cmp_ne_u32_e32 vcc, v12, v4
	v_cndmask_b32_e64 v4, 0, 1, vcc
	v_or_b32_e32 v4, v15, v4
	v_add_u32_e32 v6, 0xfffffc10, v6
	v_cvt_f64_f32_e32 v[14:15], v8
	v_lshl_or_b32 v12, v6, 12, v2
	v_cmp_gt_i32_e32 vcc, 1, v6
	v_cndmask_b32_e32 v4, v12, v4, vcc
	v_and_b32_e32 v12, 7, v4
	v_cmp_lt_i32_e32 vcc, 5, v12
	v_cmp_eq_u32_e64 s[0:1], 3, v12
	v_mul_f64 v[14:15], v[14:15], s[2:3]
	v_lshrrev_b32_e32 v4, 2, v4
	s_or_b64 vcc, s[0:1], vcc
	v_addc_co_u32_e32 v4, vcc, 0, v4, vcc
	v_cmp_gt_i32_e32 vcc, 31, v6
	v_cndmask_b32_e32 v4, v0, v4, vcc
	v_cmp_ne_u32_e32 vcc, 0, v2
	v_cndmask_b32_e64 v2, 0, 1, vcc
	v_lshl_or_b32 v2, v2, 9, v0
	v_cmp_eq_u32_e32 vcc, s10, v6
	v_cndmask_b32_e32 v2, v4, v2, vcc
	v_lshrrev_b32_e32 v4, 16, v13
	v_and_or_b32 v2, v4, s11, v2
	v_and_or_b32 v4, v15, s4, v14
	v_cmp_ne_u32_e32 vcc, 0, v4
	v_cndmask_b32_e64 v4, 0, 1, vcc
	v_lshrrev_b32_e32 v6, 8, v15
	v_bfe_u32 v8, v15, 20, 11
	v_and_or_b32 v4, v6, s5, v4
	v_sub_u32_e32 v12, 0x3f1, v8
	v_or_b32_e32 v6, 0x1000, v4
	v_med3_i32 v12, v12, 0, 13
	v_lshrrev_b32_e32 v13, v12, v6
	v_lshlrev_b32_e32 v12, v12, v13
	v_cmp_ne_u32_e32 vcc, v12, v6
	v_cndmask_b32_e64 v6, 0, 1, vcc
	v_add_u32_e32 v8, 0xfffffc10, v8
	v_or_b32_e32 v6, v13, v6
	v_lshl_or_b32 v12, v8, 12, v4
	v_cmp_gt_i32_e32 vcc, 1, v8
	v_cndmask_b32_e32 v6, v12, v6, vcc
	v_and_b32_e32 v12, 7, v6
	v_lshrrev_b32_e32 v14, 16, v1
	v_cmp_lt_i32_e32 vcc, 5, v12
	v_cmp_eq_u32_e64 s[0:1], 3, v12
	v_mul_f16_sdwa v12, v46, v14 dst_sel:DWORD dst_unused:UNUSED_PAD src0_sel:WORD_1 src1_sel:DWORD
	v_fma_f16 v12, v46, v1, v12
	v_cvt_f32_f16_e32 v12, v12
	v_lshrrev_b32_e32 v6, 2, v6
	s_or_b64 vcc, s[0:1], vcc
	v_addc_co_u32_e32 v6, vcc, 0, v6, vcc
	v_cvt_f64_f32_e32 v[12:13], v12
	v_cmp_gt_i32_e32 vcc, 31, v8
	v_cndmask_b32_e32 v6, v0, v6, vcc
	v_cmp_ne_u32_e32 vcc, 0, v4
	v_mul_f64 v[12:13], v[12:13], s[2:3]
	v_cndmask_b32_e64 v4, 0, 1, vcc
	v_lshl_or_b32 v4, v4, 9, v0
	v_cmp_eq_u32_e32 vcc, s10, v8
	v_cndmask_b32_e32 v4, v6, v4, vcc
	v_lshrrev_b32_e32 v6, 16, v15
	v_and_or_b32 v4, v6, s11, v4
	v_and_b32_e32 v2, 0xffff, v2
	v_lshl_or_b32 v2, v4, 16, v2
	v_mov_b32_e32 v4, s6
	v_add_co_u32_e32 v10, vcc, s7, v10
	v_addc_co_u32_e32 v11, vcc, v11, v4, vcc
	global_store_dword v[10:11], v2, off
	v_and_or_b32 v2, v13, s4, v12
	v_cmp_ne_u32_e32 vcc, 0, v2
	v_cndmask_b32_e64 v2, 0, 1, vcc
	v_lshrrev_b32_e32 v4, 8, v13
	v_bfe_u32 v6, v13, 20, 11
	v_and_or_b32 v4, v4, s5, v2
	v_sub_u32_e32 v8, 0x3f1, v6
	v_or_b32_e32 v2, 0x1000, v4
	v_med3_i32 v8, v8, 0, 13
	v_lshrrev_b32_e32 v12, v8, v2
	v_lshlrev_b32_e32 v8, v8, v12
	v_mul_f16_sdwa v1, v46, v1 dst_sel:DWORD dst_unused:UNUSED_PAD src0_sel:WORD_1 src1_sel:DWORD
	v_cmp_ne_u32_e32 vcc, v8, v2
	v_fma_f16 v1, v46, v14, -v1
	v_cndmask_b32_e64 v2, 0, 1, vcc
	v_add_u32_e32 v6, 0xfffffc10, v6
	v_cvt_f32_f16_e32 v1, v1
	v_or_b32_e32 v2, v12, v2
	v_lshl_or_b32 v8, v6, 12, v4
	v_cmp_gt_i32_e32 vcc, 1, v6
	v_cndmask_b32_e32 v2, v8, v2, vcc
	v_and_b32_e32 v8, 7, v2
	v_cmp_lt_i32_e32 vcc, 5, v8
	v_cmp_eq_u32_e64 s[0:1], 3, v8
	v_lshrrev_b32_e32 v8, 2, v2
	v_cvt_f64_f32_e32 v[1:2], v1
	s_or_b64 vcc, s[0:1], vcc
	v_addc_co_u32_e32 v8, vcc, 0, v8, vcc
	v_mul_f64 v[1:2], v[1:2], s[2:3]
	v_cmp_gt_i32_e32 vcc, 31, v6
	v_cndmask_b32_e32 v8, v0, v8, vcc
	v_cmp_ne_u32_e32 vcc, 0, v4
	v_cndmask_b32_e64 v4, 0, 1, vcc
	v_lshl_or_b32 v4, v4, 9, v0
	v_cmp_eq_u32_e32 vcc, s10, v6
	v_cndmask_b32_e32 v4, v8, v4, vcc
	v_and_or_b32 v1, v2, s4, v1
	v_lshrrev_b32_e32 v6, 16, v13
	v_cmp_ne_u32_e32 vcc, 0, v1
	v_and_or_b32 v4, v6, s11, v4
	v_cndmask_b32_e64 v1, 0, 1, vcc
	v_lshrrev_b32_e32 v6, 8, v2
	v_bfe_u32 v8, v2, 20, 11
	v_and_or_b32 v1, v6, s5, v1
	v_sub_u32_e32 v12, 0x3f1, v8
	v_or_b32_e32 v6, 0x1000, v1
	v_med3_i32 v12, v12, 0, 13
	v_lshrrev_b32_e32 v13, v12, v6
	v_lshlrev_b32_e32 v12, v12, v13
	v_cmp_ne_u32_e32 vcc, v12, v6
	v_cndmask_b32_e64 v6, 0, 1, vcc
	v_add_u32_e32 v8, 0xfffffc10, v8
	v_or_b32_e32 v6, v13, v6
	v_lshl_or_b32 v12, v8, 12, v1
	v_cmp_gt_i32_e32 vcc, 1, v8
	v_cndmask_b32_e32 v6, v12, v6, vcc
	v_and_b32_e32 v12, 7, v6
	v_cmp_lt_i32_e32 vcc, 5, v12
	v_cmp_eq_u32_e64 s[0:1], 3, v12
	v_lshrrev_b32_e32 v12, 16, v3
	v_lshrrev_b32_e32 v6, 2, v6
	s_or_b64 vcc, s[0:1], vcc
	v_mul_f16_sdwa v13, v44, v12 dst_sel:DWORD dst_unused:UNUSED_PAD src0_sel:WORD_1 src1_sel:DWORD
	v_addc_co_u32_e32 v6, vcc, 0, v6, vcc
	v_fma_f16 v13, v44, v3, v13
	v_cmp_gt_i32_e32 vcc, 31, v8
	v_cvt_f32_f16_e32 v13, v13
	v_cndmask_b32_e32 v6, v0, v6, vcc
	v_cmp_ne_u32_e32 vcc, 0, v1
	v_cndmask_b32_e64 v1, 0, 1, vcc
	v_lshl_or_b32 v1, v1, 9, v0
	v_cmp_eq_u32_e32 vcc, s10, v8
	v_cndmask_b32_e32 v6, v6, v1, vcc
	v_lshrrev_b32_e32 v8, 16, v2
	v_cvt_f64_f32_e32 v[1:2], v13
	v_and_or_b32 v6, v8, s11, v6
	v_mov_b32_e32 v8, 0xfffff13c
	v_mad_u64_u32 v[10:11], s[0:1], s8, v8, v[10:11]
	v_mul_f64 v[1:2], v[1:2], s[2:3]
	s_mul_i32 s0, s9, 0xfffff13c
	v_and_b32_e32 v4, 0xffff, v4
	s_sub_i32 s0, s0, s8
	v_lshl_or_b32 v4, v6, 16, v4
	v_add_u32_e32 v11, s0, v11
	global_store_dword v[10:11], v4, off
	v_mul_f16_sdwa v3, v44, v3 dst_sel:DWORD dst_unused:UNUSED_PAD src0_sel:WORD_1 src1_sel:DWORD
	v_and_or_b32 v1, v2, s4, v1
	v_cmp_ne_u32_e32 vcc, 0, v1
	v_cndmask_b32_e64 v1, 0, 1, vcc
	v_lshrrev_b32_e32 v4, 8, v2
	v_bfe_u32 v6, v2, 20, 11
	v_and_or_b32 v1, v4, s5, v1
	v_sub_u32_e32 v8, 0x3f1, v6
	v_or_b32_e32 v4, 0x1000, v1
	v_med3_i32 v8, v8, 0, 13
	v_lshrrev_b32_e32 v13, v8, v4
	v_lshlrev_b32_e32 v8, v8, v13
	v_cmp_ne_u32_e32 vcc, v8, v4
	v_fma_f16 v3, v44, v12, -v3
	v_cndmask_b32_e64 v4, 0, 1, vcc
	v_add_u32_e32 v6, 0xfffffc10, v6
	v_cvt_f32_f16_e32 v3, v3
	v_or_b32_e32 v4, v13, v4
	v_lshl_or_b32 v8, v6, 12, v1
	v_cmp_gt_i32_e32 vcc, 1, v6
	v_cndmask_b32_e32 v4, v8, v4, vcc
	v_and_b32_e32 v8, 7, v4
	v_cmp_lt_i32_e32 vcc, 5, v8
	v_cmp_eq_u32_e64 s[0:1], 3, v8
	v_lshrrev_b32_e32 v8, 2, v4
	v_cvt_f64_f32_e32 v[3:4], v3
	s_or_b64 vcc, s[0:1], vcc
	v_addc_co_u32_e32 v8, vcc, 0, v8, vcc
	v_mul_f64 v[3:4], v[3:4], s[2:3]
	v_cmp_gt_i32_e32 vcc, 31, v6
	v_cndmask_b32_e32 v8, v0, v8, vcc
	v_cmp_ne_u32_e32 vcc, 0, v1
	v_cndmask_b32_e64 v1, 0, 1, vcc
	v_lshl_or_b32 v1, v1, 9, v0
	v_cmp_eq_u32_e32 vcc, s10, v6
	v_cndmask_b32_e32 v1, v8, v1, vcc
	v_lshrrev_b32_e32 v2, 16, v2
	v_and_or_b32 v6, v2, s11, v1
	v_and_or_b32 v1, v4, s4, v3
	v_cmp_ne_u32_e32 vcc, 0, v1
	v_cndmask_b32_e64 v1, 0, 1, vcc
	v_lshrrev_b32_e32 v2, 8, v4
	v_bfe_u32 v3, v4, 20, 11
	v_and_or_b32 v1, v2, s5, v1
	v_sub_u32_e32 v8, 0x3f1, v3
	v_or_b32_e32 v2, 0x1000, v1
	v_med3_i32 v8, v8, 0, 13
	v_lshrrev_b32_e32 v12, v8, v2
	v_lshlrev_b32_e32 v8, v8, v12
	v_cmp_ne_u32_e32 vcc, v8, v2
	v_cndmask_b32_e64 v2, 0, 1, vcc
	v_add_u32_e32 v3, 0xfffffc10, v3
	v_or_b32_e32 v2, v12, v2
	v_lshl_or_b32 v8, v3, 12, v1
	v_cmp_gt_i32_e32 vcc, 1, v3
	v_cndmask_b32_e32 v2, v8, v2, vcc
	v_and_b32_e32 v8, 7, v2
	v_cmp_lt_i32_e32 vcc, 5, v8
	v_cmp_eq_u32_e64 s[0:1], 3, v8
	v_lshrrev_b32_e32 v8, 16, v5
	v_lshrrev_b32_e32 v2, 2, v2
	s_or_b64 vcc, s[0:1], vcc
	v_mul_f16_sdwa v12, v43, v8 dst_sel:DWORD dst_unused:UNUSED_PAD src0_sel:WORD_1 src1_sel:DWORD
	v_addc_co_u32_e32 v2, vcc, 0, v2, vcc
	v_fma_f16 v12, v43, v5, v12
	v_cmp_gt_i32_e32 vcc, 31, v3
	v_cvt_f32_f16_e32 v12, v12
	v_cndmask_b32_e32 v2, v0, v2, vcc
	v_cmp_ne_u32_e32 vcc, 0, v1
	v_cndmask_b32_e64 v1, 0, 1, vcc
	v_lshl_or_b32 v1, v1, 9, v0
	v_cmp_eq_u32_e32 vcc, s10, v3
	v_cndmask_b32_e32 v3, v2, v1, vcc
	v_cvt_f64_f32_e32 v[1:2], v12
	v_lshrrev_b32_e32 v4, 16, v4
	v_and_or_b32 v3, v4, s11, v3
	v_and_b32_e32 v4, 0xffff, v6
	v_mul_f64 v[1:2], v[1:2], s[2:3]
	v_lshl_or_b32 v6, v3, 16, v4
	v_mov_b32_e32 v4, s6
	v_add_co_u32_e32 v3, vcc, s7, v10
	v_addc_co_u32_e32 v4, vcc, v11, v4, vcc
	global_store_dword v[3:4], v6, off
	v_and_or_b32 v1, v2, s4, v1
	v_cmp_ne_u32_e32 vcc, 0, v1
	v_cndmask_b32_e64 v1, 0, 1, vcc
	v_lshrrev_b32_e32 v6, 8, v2
	v_bfe_u32 v10, v2, 20, 11
	v_and_or_b32 v1, v6, s5, v1
	v_sub_u32_e32 v11, 0x3f1, v10
	v_or_b32_e32 v6, 0x1000, v1
	v_med3_i32 v11, v11, 0, 13
	v_lshrrev_b32_e32 v12, v11, v6
	v_mul_f16_sdwa v5, v43, v5 dst_sel:DWORD dst_unused:UNUSED_PAD src0_sel:WORD_1 src1_sel:DWORD
	v_lshlrev_b32_e32 v11, v11, v12
	v_fma_f16 v5, v43, v8, -v5
	v_cmp_ne_u32_e32 vcc, v11, v6
	v_cvt_f32_f16_e32 v5, v5
	v_cndmask_b32_e64 v6, 0, 1, vcc
	v_add_u32_e32 v10, 0xfffffc10, v10
	v_or_b32_e32 v6, v12, v6
	v_lshl_or_b32 v11, v10, 12, v1
	v_cmp_gt_i32_e32 vcc, 1, v10
	v_cndmask_b32_e32 v6, v11, v6, vcc
	v_and_b32_e32 v11, 7, v6
	v_lshrrev_b32_e32 v8, 2, v6
	v_cvt_f64_f32_e32 v[5:6], v5
	v_cmp_lt_i32_e32 vcc, 5, v11
	v_cmp_eq_u32_e64 s[0:1], 3, v11
	s_or_b64 vcc, s[0:1], vcc
	v_mul_f64 v[5:6], v[5:6], s[2:3]
	v_addc_co_u32_e32 v8, vcc, 0, v8, vcc
	v_cmp_gt_i32_e32 vcc, 31, v10
	v_cndmask_b32_e32 v8, v0, v8, vcc
	v_cmp_ne_u32_e32 vcc, 0, v1
	v_cndmask_b32_e64 v1, 0, 1, vcc
	v_lshl_or_b32 v1, v1, 9, v0
	v_cmp_eq_u32_e32 vcc, s10, v10
	v_cndmask_b32_e32 v1, v8, v1, vcc
	v_lshrrev_b32_e32 v2, 16, v2
	v_and_or_b32 v8, v2, s11, v1
	v_and_or_b32 v1, v6, s4, v5
	v_cmp_ne_u32_e32 vcc, 0, v1
	v_cndmask_b32_e64 v1, 0, 1, vcc
	v_lshrrev_b32_e32 v2, 8, v6
	v_bfe_u32 v5, v6, 20, 11
	v_and_or_b32 v1, v2, s5, v1
	v_sub_u32_e32 v10, 0x3f1, v5
	v_or_b32_e32 v2, 0x1000, v1
	v_med3_i32 v10, v10, 0, 13
	v_lshrrev_b32_e32 v11, v10, v2
	v_lshlrev_b32_e32 v10, v10, v11
	v_cmp_ne_u32_e32 vcc, v10, v2
	v_cndmask_b32_e64 v2, 0, 1, vcc
	v_add_u32_e32 v5, 0xfffffc10, v5
	v_or_b32_e32 v2, v11, v2
	v_lshl_or_b32 v10, v5, 12, v1
	v_cmp_gt_i32_e32 vcc, 1, v5
	v_cndmask_b32_e32 v2, v10, v2, vcc
	v_and_b32_e32 v10, 7, v2
	v_cmp_lt_i32_e32 vcc, 5, v10
	v_cmp_eq_u32_e64 s[0:1], 3, v10
	v_lshrrev_b32_e32 v10, 16, v7
	v_lshrrev_b32_e32 v2, 2, v2
	s_or_b64 vcc, s[0:1], vcc
	v_mul_f16_sdwa v11, v42, v10 dst_sel:DWORD dst_unused:UNUSED_PAD src0_sel:WORD_1 src1_sel:DWORD
	v_addc_co_u32_e32 v2, vcc, 0, v2, vcc
	v_fma_f16 v11, v42, v7, v11
	v_cmp_gt_i32_e32 vcc, 31, v5
	v_cvt_f32_f16_e32 v11, v11
	v_cndmask_b32_e32 v2, v0, v2, vcc
	v_cmp_ne_u32_e32 vcc, 0, v1
	v_cndmask_b32_e64 v1, 0, 1, vcc
	v_lshl_or_b32 v1, v1, 9, v0
	v_cmp_eq_u32_e32 vcc, s10, v5
	v_cndmask_b32_e32 v5, v2, v1, vcc
	v_cvt_f64_f32_e32 v[1:2], v11
	v_lshrrev_b32_e32 v6, 16, v6
	v_and_or_b32 v5, v6, s11, v5
	v_and_b32_e32 v6, 0xffff, v8
	v_mul_f64 v[1:2], v[1:2], s[2:3]
	v_lshl_or_b32 v5, v5, 16, v6
	v_mov_b32_e32 v6, s6
	v_add_co_u32_e32 v3, vcc, s7, v3
	v_addc_co_u32_e32 v4, vcc, v4, v6, vcc
	global_store_dword v[3:4], v5, off
	v_and_or_b32 v1, v2, s4, v1
	v_cmp_ne_u32_e32 vcc, 0, v1
	v_cndmask_b32_e64 v1, 0, 1, vcc
	v_lshrrev_b32_e32 v5, 8, v2
	v_bfe_u32 v6, v2, 20, 11
	v_and_or_b32 v1, v5, s5, v1
	v_sub_u32_e32 v8, 0x3f1, v6
	v_or_b32_e32 v5, 0x1000, v1
	v_med3_i32 v8, v8, 0, 13
	v_lshrrev_b32_e32 v11, v8, v5
	v_lshlrev_b32_e32 v8, v8, v11
	v_mul_f16_sdwa v7, v42, v7 dst_sel:DWORD dst_unused:UNUSED_PAD src0_sel:WORD_1 src1_sel:DWORD
	v_cmp_ne_u32_e32 vcc, v8, v5
	v_fma_f16 v7, v42, v10, -v7
	v_cndmask_b32_e64 v5, 0, 1, vcc
	v_add_u32_e32 v8, 0xfffffc10, v6
	v_cvt_f32_f16_e32 v7, v7
	v_or_b32_e32 v5, v11, v5
	v_lshl_or_b32 v6, v8, 12, v1
	v_cmp_gt_i32_e32 vcc, 1, v8
	v_cndmask_b32_e32 v5, v6, v5, vcc
	v_and_b32_e32 v6, 7, v5
	v_cmp_lt_i32_e32 vcc, 5, v6
	v_cmp_eq_u32_e64 s[0:1], 3, v6
	v_lshrrev_b32_e32 v10, 2, v5
	v_cvt_f64_f32_e32 v[5:6], v7
	s_or_b64 vcc, s[0:1], vcc
	v_addc_co_u32_e32 v7, vcc, 0, v10, vcc
	v_mul_f64 v[5:6], v[5:6], s[2:3]
	v_cmp_gt_i32_e32 vcc, 31, v8
	v_cndmask_b32_e32 v7, v0, v7, vcc
	v_cmp_ne_u32_e32 vcc, 0, v1
	v_cndmask_b32_e64 v1, 0, 1, vcc
	v_lshl_or_b32 v1, v1, 9, v0
	v_cmp_eq_u32_e32 vcc, s10, v8
	v_cndmask_b32_e32 v1, v7, v1, vcc
	v_lshrrev_b32_e32 v2, 16, v2
	v_and_or_b32 v7, v2, s11, v1
	v_and_or_b32 v1, v6, s4, v5
	v_cmp_ne_u32_e32 vcc, 0, v1
	v_cndmask_b32_e64 v1, 0, 1, vcc
	v_lshrrev_b32_e32 v2, 8, v6
	v_bfe_u32 v5, v6, 20, 11
	v_and_or_b32 v1, v2, s5, v1
	v_sub_u32_e32 v8, 0x3f1, v5
	v_or_b32_e32 v2, 0x1000, v1
	v_med3_i32 v8, v8, 0, 13
	v_lshrrev_b32_e32 v10, v8, v2
	v_lshlrev_b32_e32 v8, v8, v10
	v_cmp_ne_u32_e32 vcc, v8, v2
	v_cndmask_b32_e64 v2, 0, 1, vcc
	v_add_u32_e32 v5, 0xfffffc10, v5
	v_or_b32_e32 v2, v10, v2
	v_lshl_or_b32 v8, v5, 12, v1
	v_cmp_gt_i32_e32 vcc, 1, v5
	v_cndmask_b32_e32 v2, v8, v2, vcc
	v_and_b32_e32 v8, 7, v2
	v_cmp_lt_i32_e32 vcc, 5, v8
	v_cmp_eq_u32_e64 s[0:1], 3, v8
	v_lshrrev_b32_e32 v8, 16, v9
	v_lshrrev_b32_e32 v2, 2, v2
	s_or_b64 vcc, s[0:1], vcc
	v_mul_f16_sdwa v10, v41, v8 dst_sel:DWORD dst_unused:UNUSED_PAD src0_sel:WORD_1 src1_sel:DWORD
	v_addc_co_u32_e32 v2, vcc, 0, v2, vcc
	v_fma_f16 v10, v41, v9, v10
	v_cmp_gt_i32_e32 vcc, 31, v5
	v_cvt_f32_f16_e32 v10, v10
	v_cndmask_b32_e32 v2, v0, v2, vcc
	v_cmp_ne_u32_e32 vcc, 0, v1
	v_cndmask_b32_e64 v1, 0, 1, vcc
	v_lshl_or_b32 v1, v1, 9, v0
	v_cmp_eq_u32_e32 vcc, s10, v5
	v_cndmask_b32_e32 v5, v2, v1, vcc
	v_cvt_f64_f32_e32 v[1:2], v10
	v_lshrrev_b32_e32 v6, 16, v6
	v_and_or_b32 v5, v6, s11, v5
	v_and_b32_e32 v6, 0xffff, v7
	v_mul_f64 v[1:2], v[1:2], s[2:3]
	v_lshl_or_b32 v5, v5, 16, v6
	v_mov_b32_e32 v6, s6
	v_add_co_u32_e32 v3, vcc, s7, v3
	v_addc_co_u32_e32 v4, vcc, v4, v6, vcc
	global_store_dword v[3:4], v5, off
	v_and_or_b32 v1, v2, s4, v1
	v_cmp_ne_u32_e32 vcc, 0, v1
	v_cndmask_b32_e64 v1, 0, 1, vcc
	v_lshrrev_b32_e32 v5, 8, v2
	v_bfe_u32 v6, v2, 20, 11
	v_and_or_b32 v1, v5, s5, v1
	v_sub_u32_e32 v7, 0x3f1, v6
	v_or_b32_e32 v5, 0x1000, v1
	v_med3_i32 v7, v7, 0, 13
	v_lshrrev_b32_e32 v10, v7, v5
	v_lshlrev_b32_e32 v7, v7, v10
	v_mul_f16_sdwa v9, v41, v9 dst_sel:DWORD dst_unused:UNUSED_PAD src0_sel:WORD_1 src1_sel:DWORD
	v_cmp_ne_u32_e32 vcc, v7, v5
	v_fma_f16 v8, v41, v8, -v9
	v_cndmask_b32_e64 v5, 0, 1, vcc
	v_add_u32_e32 v7, 0xfffffc10, v6
	v_cvt_f32_f16_e32 v8, v8
	v_or_b32_e32 v5, v10, v5
	v_lshl_or_b32 v6, v7, 12, v1
	v_cmp_gt_i32_e32 vcc, 1, v7
	v_cndmask_b32_e32 v5, v6, v5, vcc
	v_and_b32_e32 v6, 7, v5
	v_cmp_lt_i32_e32 vcc, 5, v6
	v_cmp_eq_u32_e64 s[0:1], 3, v6
	v_lshrrev_b32_e32 v9, 2, v5
	v_cvt_f64_f32_e32 v[5:6], v8
	s_or_b64 vcc, s[0:1], vcc
	v_addc_co_u32_e32 v8, vcc, 0, v9, vcc
	v_mul_f64 v[5:6], v[5:6], s[2:3]
	v_cmp_gt_i32_e32 vcc, 31, v7
	v_cndmask_b32_e32 v8, v0, v8, vcc
	v_cmp_ne_u32_e32 vcc, 0, v1
	v_cndmask_b32_e64 v1, 0, 1, vcc
	v_lshl_or_b32 v1, v1, 9, v0
	v_cmp_eq_u32_e32 vcc, s10, v7
	v_cndmask_b32_e32 v1, v8, v1, vcc
	v_lshrrev_b32_e32 v2, 16, v2
	v_and_or_b32 v1, v2, s11, v1
	v_and_or_b32 v2, v6, s4, v5
	v_cmp_ne_u32_e32 vcc, 0, v2
	v_cndmask_b32_e64 v2, 0, 1, vcc
	v_lshrrev_b32_e32 v5, 8, v6
	v_bfe_u32 v7, v6, 20, 11
	v_and_or_b32 v2, v5, s5, v2
	v_sub_u32_e32 v8, 0x3f1, v7
	v_or_b32_e32 v5, 0x1000, v2
	v_med3_i32 v8, v8, 0, 13
	v_lshrrev_b32_e32 v9, v8, v5
	v_lshlrev_b32_e32 v8, v8, v9
	v_cmp_ne_u32_e32 vcc, v8, v5
	v_cndmask_b32_e64 v5, 0, 1, vcc
	v_add_u32_e32 v7, 0xfffffc10, v7
	v_or_b32_e32 v5, v9, v5
	v_lshl_or_b32 v8, v7, 12, v2
	v_cmp_gt_i32_e32 vcc, 1, v7
	v_cndmask_b32_e32 v5, v8, v5, vcc
	v_and_b32_e32 v8, 7, v5
	v_cmp_lt_i32_e32 vcc, 5, v8
	v_cmp_eq_u32_e64 s[0:1], 3, v8
	v_lshrrev_b32_e32 v5, 2, v5
	s_or_b64 vcc, s[0:1], vcc
	v_addc_co_u32_e32 v5, vcc, 0, v5, vcc
	v_cmp_gt_i32_e32 vcc, 31, v7
	v_cndmask_b32_e32 v5, v0, v5, vcc
	v_cmp_ne_u32_e32 vcc, 0, v2
	v_cndmask_b32_e64 v2, 0, 1, vcc
	v_lshl_or_b32 v0, v2, 9, v0
	v_cmp_eq_u32_e32 vcc, s10, v7
	v_cndmask_b32_e32 v0, v5, v0, vcc
	v_lshrrev_b32_e32 v2, 16, v6
	v_and_or_b32 v0, v2, s11, v0
	v_and_b32_e32 v1, 0xffff, v1
	v_lshl_or_b32 v2, v0, 16, v1
	v_mov_b32_e32 v1, s6
	v_add_co_u32_e32 v0, vcc, s7, v3
	v_addc_co_u32_e32 v1, vcc, v4, v1, vcc
	global_store_dword v[0:1], v2, off
.LBB0_26:
	s_endpgm
	.section	.rodata,"a",@progbits
	.p2align	6, 0x0
	.amdhsa_kernel bluestein_single_fwd_len1350_dim1_half_op_CI_CI
		.amdhsa_group_segment_fixed_size 5400
		.amdhsa_private_segment_fixed_size 0
		.amdhsa_kernarg_size 104
		.amdhsa_user_sgpr_count 6
		.amdhsa_user_sgpr_private_segment_buffer 1
		.amdhsa_user_sgpr_dispatch_ptr 0
		.amdhsa_user_sgpr_queue_ptr 0
		.amdhsa_user_sgpr_kernarg_segment_ptr 1
		.amdhsa_user_sgpr_dispatch_id 0
		.amdhsa_user_sgpr_flat_scratch_init 0
		.amdhsa_user_sgpr_private_segment_size 0
		.amdhsa_uses_dynamic_stack 0
		.amdhsa_system_sgpr_private_segment_wavefront_offset 0
		.amdhsa_system_sgpr_workgroup_id_x 1
		.amdhsa_system_sgpr_workgroup_id_y 0
		.amdhsa_system_sgpr_workgroup_id_z 0
		.amdhsa_system_sgpr_workgroup_info 0
		.amdhsa_system_vgpr_workitem_id 0
		.amdhsa_next_free_vgpr 98
		.amdhsa_next_free_sgpr 20
		.amdhsa_reserve_vcc 1
		.amdhsa_reserve_flat_scratch 0
		.amdhsa_float_round_mode_32 0
		.amdhsa_float_round_mode_16_64 0
		.amdhsa_float_denorm_mode_32 3
		.amdhsa_float_denorm_mode_16_64 3
		.amdhsa_dx10_clamp 1
		.amdhsa_ieee_mode 1
		.amdhsa_fp16_overflow 0
		.amdhsa_exception_fp_ieee_invalid_op 0
		.amdhsa_exception_fp_denorm_src 0
		.amdhsa_exception_fp_ieee_div_zero 0
		.amdhsa_exception_fp_ieee_overflow 0
		.amdhsa_exception_fp_ieee_underflow 0
		.amdhsa_exception_fp_ieee_inexact 0
		.amdhsa_exception_int_div_zero 0
	.end_amdhsa_kernel
	.text
.Lfunc_end0:
	.size	bluestein_single_fwd_len1350_dim1_half_op_CI_CI, .Lfunc_end0-bluestein_single_fwd_len1350_dim1_half_op_CI_CI
                                        ; -- End function
	.section	.AMDGPU.csdata,"",@progbits
; Kernel info:
; codeLenInByte = 17696
; NumSgprs: 24
; NumVgprs: 98
; ScratchSize: 0
; MemoryBound: 0
; FloatMode: 240
; IeeeMode: 1
; LDSByteSize: 5400 bytes/workgroup (compile time only)
; SGPRBlocks: 2
; VGPRBlocks: 24
; NumSGPRsForWavesPerEU: 24
; NumVGPRsForWavesPerEU: 98
; Occupancy: 2
; WaveLimiterHint : 1
; COMPUTE_PGM_RSRC2:SCRATCH_EN: 0
; COMPUTE_PGM_RSRC2:USER_SGPR: 6
; COMPUTE_PGM_RSRC2:TRAP_HANDLER: 0
; COMPUTE_PGM_RSRC2:TGID_X_EN: 1
; COMPUTE_PGM_RSRC2:TGID_Y_EN: 0
; COMPUTE_PGM_RSRC2:TGID_Z_EN: 0
; COMPUTE_PGM_RSRC2:TIDIG_COMP_CNT: 0
	.type	__hip_cuid_a8e776fa7c5aa516,@object ; @__hip_cuid_a8e776fa7c5aa516
	.section	.bss,"aw",@nobits
	.globl	__hip_cuid_a8e776fa7c5aa516
__hip_cuid_a8e776fa7c5aa516:
	.byte	0                               ; 0x0
	.size	__hip_cuid_a8e776fa7c5aa516, 1

	.ident	"AMD clang version 19.0.0git (https://github.com/RadeonOpenCompute/llvm-project roc-6.4.0 25133 c7fe45cf4b819c5991fe208aaa96edf142730f1d)"
	.section	".note.GNU-stack","",@progbits
	.addrsig
	.addrsig_sym __hip_cuid_a8e776fa7c5aa516
	.amdgpu_metadata
---
amdhsa.kernels:
  - .args:
      - .actual_access:  read_only
        .address_space:  global
        .offset:         0
        .size:           8
        .value_kind:     global_buffer
      - .actual_access:  read_only
        .address_space:  global
        .offset:         8
        .size:           8
        .value_kind:     global_buffer
      - .actual_access:  read_only
        .address_space:  global
        .offset:         16
        .size:           8
        .value_kind:     global_buffer
      - .actual_access:  read_only
        .address_space:  global
        .offset:         24
        .size:           8
        .value_kind:     global_buffer
      - .actual_access:  read_only
        .address_space:  global
        .offset:         32
        .size:           8
        .value_kind:     global_buffer
      - .offset:         40
        .size:           8
        .value_kind:     by_value
      - .address_space:  global
        .offset:         48
        .size:           8
        .value_kind:     global_buffer
      - .address_space:  global
        .offset:         56
        .size:           8
        .value_kind:     global_buffer
      - .address_space:  global
        .offset:         64
        .size:           8
        .value_kind:     global_buffer
      - .address_space:  global
        .offset:         72
        .size:           8
        .value_kind:     global_buffer
      - .offset:         80
        .size:           4
        .value_kind:     by_value
      - .address_space:  global
        .offset:         88
        .size:           8
        .value_kind:     global_buffer
      - .address_space:  global
        .offset:         96
        .size:           8
        .value_kind:     global_buffer
    .group_segment_fixed_size: 5400
    .kernarg_segment_align: 8
    .kernarg_segment_size: 104
    .language:       OpenCL C
    .language_version:
      - 2
      - 0
    .max_flat_workgroup_size: 135
    .name:           bluestein_single_fwd_len1350_dim1_half_op_CI_CI
    .private_segment_fixed_size: 0
    .sgpr_count:     24
    .sgpr_spill_count: 0
    .symbol:         bluestein_single_fwd_len1350_dim1_half_op_CI_CI.kd
    .uniform_work_group_size: 1
    .uses_dynamic_stack: false
    .vgpr_count:     98
    .vgpr_spill_count: 0
    .wavefront_size: 64
amdhsa.target:   amdgcn-amd-amdhsa--gfx906
amdhsa.version:
  - 1
  - 2
...

	.end_amdgpu_metadata
